;; amdgpu-corpus repo=ROCm/rocFFT kind=compiled arch=gfx906 opt=O3
	.text
	.amdgcn_target "amdgcn-amd-amdhsa--gfx906"
	.amdhsa_code_object_version 6
	.protected	fft_rtc_fwd_len1768_factors_17_13_8_wgs_136_tpt_136_halfLds_dp_op_CI_CI_unitstride_sbrr_R2C_dirReg ; -- Begin function fft_rtc_fwd_len1768_factors_17_13_8_wgs_136_tpt_136_halfLds_dp_op_CI_CI_unitstride_sbrr_R2C_dirReg
	.globl	fft_rtc_fwd_len1768_factors_17_13_8_wgs_136_tpt_136_halfLds_dp_op_CI_CI_unitstride_sbrr_R2C_dirReg
	.p2align	8
	.type	fft_rtc_fwd_len1768_factors_17_13_8_wgs_136_tpt_136_halfLds_dp_op_CI_CI_unitstride_sbrr_R2C_dirReg,@function
fft_rtc_fwd_len1768_factors_17_13_8_wgs_136_tpt_136_halfLds_dp_op_CI_CI_unitstride_sbrr_R2C_dirReg: ; @fft_rtc_fwd_len1768_factors_17_13_8_wgs_136_tpt_136_halfLds_dp_op_CI_CI_unitstride_sbrr_R2C_dirReg
; %bb.0:
	s_load_dwordx4 s[8:11], s[4:5], 0x58
	s_load_dwordx4 s[12:15], s[4:5], 0x0
	;; [unrolled: 1-line block ×3, first 2 shown]
	s_mov_b64 s[62:63], s[2:3]
	s_mov_b64 s[60:61], s[0:1]
	v_mul_u32_u24_e32 v1, 0x1e2, v0
	s_waitcnt lgkmcnt(0)
	v_cmp_lt_u64_e64 s[0:1], s[14:15], 2
	s_add_u32 s60, s60, s7
	v_add_u32_sdwa v5, s6, v1 dst_sel:DWORD dst_unused:UNUSED_PAD src0_sel:DWORD src1_sel:WORD_1
	v_mov_b32_e32 v3, 0
	v_mov_b32_e32 v1, 0
	s_addc_u32 s61, s61, 0
	v_mov_b32_e32 v6, v3
	s_and_b64 vcc, exec, s[0:1]
	v_mov_b32_e32 v2, 0
	s_cbranch_vccnz .LBB0_8
; %bb.1:
	s_load_dwordx2 s[0:1], s[4:5], 0x10
	s_add_u32 s2, s18, 8
	s_addc_u32 s3, s19, 0
	s_add_u32 s6, s16, 8
	v_mov_b32_e32 v1, 0
	s_addc_u32 s7, s17, 0
	v_mov_b32_e32 v2, 0
	s_waitcnt lgkmcnt(0)
	s_add_u32 s20, s0, 8
	v_mov_b32_e32 v113, v2
	s_addc_u32 s21, s1, 0
	s_mov_b64 s[22:23], 1
	v_mov_b32_e32 v112, v1
.LBB0_2:                                ; =>This Inner Loop Header: Depth=1
	s_load_dwordx2 s[24:25], s[20:21], 0x0
                                        ; implicit-def: $vgpr116_vgpr117
	s_waitcnt lgkmcnt(0)
	v_or_b32_e32 v4, s25, v6
	v_cmp_ne_u64_e32 vcc, 0, v[3:4]
	s_and_saveexec_b64 s[0:1], vcc
	s_xor_b64 s[26:27], exec, s[0:1]
	s_cbranch_execz .LBB0_4
; %bb.3:                                ;   in Loop: Header=BB0_2 Depth=1
	v_cvt_f32_u32_e32 v4, s24
	v_cvt_f32_u32_e32 v7, s25
	s_sub_u32 s0, 0, s24
	s_subb_u32 s1, 0, s25
	v_mac_f32_e32 v4, 0x4f800000, v7
	v_rcp_f32_e32 v4, v4
	v_mul_f32_e32 v4, 0x5f7ffffc, v4
	v_mul_f32_e32 v7, 0x2f800000, v4
	v_trunc_f32_e32 v7, v7
	v_mac_f32_e32 v4, 0xcf800000, v7
	v_cvt_u32_f32_e32 v7, v7
	v_cvt_u32_f32_e32 v4, v4
	v_mul_lo_u32 v8, s0, v7
	v_mul_hi_u32 v9, s0, v4
	v_mul_lo_u32 v11, s1, v4
	v_mul_lo_u32 v10, s0, v4
	v_add_u32_e32 v8, v9, v8
	v_add_u32_e32 v8, v8, v11
	v_mul_hi_u32 v9, v4, v10
	v_mul_lo_u32 v11, v4, v8
	v_mul_hi_u32 v13, v4, v8
	v_mul_hi_u32 v12, v7, v10
	v_mul_lo_u32 v10, v7, v10
	v_mul_hi_u32 v14, v7, v8
	v_add_co_u32_e32 v9, vcc, v9, v11
	v_addc_co_u32_e32 v11, vcc, 0, v13, vcc
	v_mul_lo_u32 v8, v7, v8
	v_add_co_u32_e32 v9, vcc, v9, v10
	v_addc_co_u32_e32 v9, vcc, v11, v12, vcc
	v_addc_co_u32_e32 v10, vcc, 0, v14, vcc
	v_add_co_u32_e32 v8, vcc, v9, v8
	v_addc_co_u32_e32 v9, vcc, 0, v10, vcc
	v_add_co_u32_e32 v4, vcc, v4, v8
	v_addc_co_u32_e32 v7, vcc, v7, v9, vcc
	v_mul_lo_u32 v8, s0, v7
	v_mul_hi_u32 v9, s0, v4
	v_mul_lo_u32 v10, s1, v4
	v_mul_lo_u32 v11, s0, v4
	v_add_u32_e32 v8, v9, v8
	v_add_u32_e32 v8, v8, v10
	v_mul_lo_u32 v12, v4, v8
	v_mul_hi_u32 v13, v4, v11
	v_mul_hi_u32 v14, v4, v8
	;; [unrolled: 1-line block ×3, first 2 shown]
	v_mul_lo_u32 v11, v7, v11
	v_mul_hi_u32 v9, v7, v8
	v_add_co_u32_e32 v12, vcc, v13, v12
	v_addc_co_u32_e32 v13, vcc, 0, v14, vcc
	v_mul_lo_u32 v8, v7, v8
	v_add_co_u32_e32 v11, vcc, v12, v11
	v_addc_co_u32_e32 v10, vcc, v13, v10, vcc
	v_addc_co_u32_e32 v9, vcc, 0, v9, vcc
	v_add_co_u32_e32 v8, vcc, v10, v8
	v_addc_co_u32_e32 v9, vcc, 0, v9, vcc
	v_add_co_u32_e32 v4, vcc, v4, v8
	v_addc_co_u32_e32 v9, vcc, v7, v9, vcc
	v_mad_u64_u32 v[7:8], s[0:1], v5, v9, 0
	v_mul_hi_u32 v10, v5, v4
	v_add_co_u32_e32 v11, vcc, v10, v7
	v_addc_co_u32_e32 v12, vcc, 0, v8, vcc
	v_mad_u64_u32 v[7:8], s[0:1], v6, v4, 0
	v_mad_u64_u32 v[9:10], s[0:1], v6, v9, 0
	v_add_co_u32_e32 v4, vcc, v11, v7
	v_addc_co_u32_e32 v4, vcc, v12, v8, vcc
	v_addc_co_u32_e32 v7, vcc, 0, v10, vcc
	v_add_co_u32_e32 v4, vcc, v4, v9
	v_addc_co_u32_e32 v9, vcc, 0, v7, vcc
	v_mul_lo_u32 v10, s25, v4
	v_mul_lo_u32 v11, s24, v9
	v_mad_u64_u32 v[7:8], s[0:1], s24, v4, 0
	v_add3_u32 v8, v8, v11, v10
	v_sub_u32_e32 v10, v6, v8
	v_mov_b32_e32 v11, s25
	v_sub_co_u32_e32 v7, vcc, v5, v7
	v_subb_co_u32_e64 v10, s[0:1], v10, v11, vcc
	v_subrev_co_u32_e64 v11, s[0:1], s24, v7
	v_subbrev_co_u32_e64 v10, s[0:1], 0, v10, s[0:1]
	v_cmp_le_u32_e64 s[0:1], s25, v10
	v_cndmask_b32_e64 v12, 0, -1, s[0:1]
	v_cmp_le_u32_e64 s[0:1], s24, v11
	v_cndmask_b32_e64 v11, 0, -1, s[0:1]
	v_cmp_eq_u32_e64 s[0:1], s25, v10
	v_cndmask_b32_e64 v10, v12, v11, s[0:1]
	v_add_co_u32_e64 v11, s[0:1], 2, v4
	v_addc_co_u32_e64 v12, s[0:1], 0, v9, s[0:1]
	v_add_co_u32_e64 v13, s[0:1], 1, v4
	v_addc_co_u32_e64 v14, s[0:1], 0, v9, s[0:1]
	v_subb_co_u32_e32 v8, vcc, v6, v8, vcc
	v_cmp_ne_u32_e64 s[0:1], 0, v10
	v_cmp_le_u32_e32 vcc, s25, v8
	v_cndmask_b32_e64 v10, v14, v12, s[0:1]
	v_cndmask_b32_e64 v12, 0, -1, vcc
	v_cmp_le_u32_e32 vcc, s24, v7
	v_cndmask_b32_e64 v7, 0, -1, vcc
	v_cmp_eq_u32_e32 vcc, s25, v8
	v_cndmask_b32_e32 v7, v12, v7, vcc
	v_cmp_ne_u32_e32 vcc, 0, v7
	v_cndmask_b32_e64 v7, v13, v11, s[0:1]
	v_cndmask_b32_e32 v117, v9, v10, vcc
	v_cndmask_b32_e32 v116, v4, v7, vcc
.LBB0_4:                                ;   in Loop: Header=BB0_2 Depth=1
	s_andn2_saveexec_b64 s[0:1], s[26:27]
	s_cbranch_execz .LBB0_6
; %bb.5:                                ;   in Loop: Header=BB0_2 Depth=1
	v_cvt_f32_u32_e32 v4, s24
	s_sub_i32 s26, 0, s24
	v_mov_b32_e32 v117, v3
	v_rcp_iflag_f32_e32 v4, v4
	v_mul_f32_e32 v4, 0x4f7ffffe, v4
	v_cvt_u32_f32_e32 v4, v4
	v_mul_lo_u32 v7, s26, v4
	v_mul_hi_u32 v7, v4, v7
	v_add_u32_e32 v4, v4, v7
	v_mul_hi_u32 v4, v5, v4
	v_mul_lo_u32 v7, v4, s24
	v_add_u32_e32 v8, 1, v4
	v_sub_u32_e32 v7, v5, v7
	v_subrev_u32_e32 v9, s24, v7
	v_cmp_le_u32_e32 vcc, s24, v7
	v_cndmask_b32_e32 v7, v7, v9, vcc
	v_cndmask_b32_e32 v4, v4, v8, vcc
	v_add_u32_e32 v8, 1, v4
	v_cmp_le_u32_e32 vcc, s24, v7
	v_cndmask_b32_e32 v116, v4, v8, vcc
.LBB0_6:                                ;   in Loop: Header=BB0_2 Depth=1
	s_or_b64 exec, exec, s[0:1]
	v_mul_lo_u32 v4, v117, s24
	v_mul_lo_u32 v9, v116, s25
	v_mad_u64_u32 v[7:8], s[0:1], v116, s24, 0
	s_load_dwordx2 s[0:1], s[6:7], 0x0
	s_load_dwordx2 s[24:25], s[2:3], 0x0
	v_add3_u32 v4, v8, v9, v4
	v_sub_co_u32_e32 v5, vcc, v5, v7
	v_subb_co_u32_e32 v4, vcc, v6, v4, vcc
	s_waitcnt lgkmcnt(0)
	v_mul_lo_u32 v6, s0, v4
	v_mul_lo_u32 v7, s1, v5
	v_mad_u64_u32 v[1:2], s[0:1], s0, v5, v[1:2]
	v_mul_lo_u32 v4, s24, v4
	v_mul_lo_u32 v8, s25, v5
	v_mad_u64_u32 v[112:113], s[0:1], s24, v5, v[112:113]
	s_add_u32 s22, s22, 1
	s_addc_u32 s23, s23, 0
	s_add_u32 s2, s2, 8
	v_add3_u32 v113, v8, v113, v4
	s_addc_u32 s3, s3, 0
	v_mov_b32_e32 v4, s14
	s_add_u32 s6, s6, 8
	v_mov_b32_e32 v5, s15
	s_addc_u32 s7, s7, 0
	v_cmp_ge_u64_e32 vcc, s[22:23], v[4:5]
	s_add_u32 s20, s20, 8
	v_add3_u32 v2, v7, v2, v6
	s_addc_u32 s21, s21, 0
	s_cbranch_vccnz .LBB0_9
; %bb.7:                                ;   in Loop: Header=BB0_2 Depth=1
	v_mov_b32_e32 v5, v116
	v_mov_b32_e32 v6, v117
	s_branch .LBB0_2
.LBB0_8:
	v_mov_b32_e32 v113, v2
	v_mov_b32_e32 v117, v6
	;; [unrolled: 1-line block ×4, first 2 shown]
.LBB0_9:
	s_load_dwordx2 s[4:5], s[4:5], 0x28
	s_lshl_b64 s[6:7], s[14:15], 3
	s_add_u32 s2, s18, s6
	s_addc_u32 s3, s19, s7
                                        ; implicit-def: $vgpr114
	s_waitcnt lgkmcnt(0)
	v_cmp_gt_u64_e64 s[0:1], s[4:5], v[116:117]
	v_cmp_le_u64_e32 vcc, s[4:5], v[116:117]
	s_and_saveexec_b64 s[4:5], vcc
	s_xor_b64 s[4:5], exec, s[4:5]
; %bb.10:
	s_mov_b32 s14, 0x1e1e1e2
	v_mul_hi_u32 v1, v0, s14
	v_mul_u32_u24_e32 v1, 0x88, v1
	v_sub_u32_e32 v114, v0, v1
                                        ; implicit-def: $vgpr0
                                        ; implicit-def: $vgpr1_vgpr2
; %bb.11:
	s_andn2_saveexec_b64 s[4:5], s[4:5]
	s_cbranch_execz .LBB0_13
; %bb.12:
	s_add_u32 s6, s16, s6
	s_addc_u32 s7, s17, s7
	s_load_dwordx2 s[6:7], s[6:7], 0x0
	s_mov_b32 s14, 0x1e1e1e2
	v_mul_hi_u32 v5, v0, s14
	s_waitcnt lgkmcnt(0)
	v_mul_lo_u32 v6, s7, v116
	v_mul_lo_u32 v7, s6, v117
	v_mad_u64_u32 v[3:4], s[6:7], s6, v116, 0
	v_mul_u32_u24_e32 v5, 0x88, v5
	v_sub_u32_e32 v114, v0, v5
	v_add3_u32 v4, v4, v7, v6
	v_lshlrev_b64 v[3:4], 4, v[3:4]
	v_mov_b32_e32 v0, s9
	v_add_co_u32_e32 v3, vcc, s8, v3
	v_addc_co_u32_e32 v4, vcc, v0, v4, vcc
	v_lshlrev_b64 v[0:1], 4, v[1:2]
	v_lshlrev_b32_e32 v56, 4, v114
	v_add_co_u32_e32 v0, vcc, v3, v0
	v_addc_co_u32_e32 v1, vcc, v4, v1, vcc
	v_add_co_u32_e32 v40, vcc, v0, v56
	v_addc_co_u32_e32 v41, vcc, 0, v1, vcc
	s_movk_i32 s6, 0x1000
	v_add_co_u32_e32 v16, vcc, s6, v40
	v_addc_co_u32_e32 v17, vcc, 0, v41, vcc
	s_movk_i32 s6, 0x2000
	;; [unrolled: 3-line block ×4, first 2 shown]
	v_add_co_u32_e32 v42, vcc, s6, v40
	v_addc_co_u32_e32 v43, vcc, 0, v41, vcc
	v_add_co_u32_e32 v52, vcc, 0x5000, v40
	v_addc_co_u32_e32 v53, vcc, 0, v41, vcc
	v_add_co_u32_e32 v54, vcc, 0x6000, v40
	global_load_dwordx4 v[0:3], v[40:41], off
	global_load_dwordx4 v[4:7], v[40:41], off offset:2176
	global_load_dwordx4 v[8:11], v[16:17], off offset:256
	;; [unrolled: 1-line block ×3, first 2 shown]
	s_nop 0
	global_load_dwordx4 v[16:19], v[24:25], off offset:512
	global_load_dwordx4 v[20:23], v[24:25], off offset:2688
	s_nop 0
	global_load_dwordx4 v[24:27], v[32:33], off offset:768
	global_load_dwordx4 v[28:31], v[32:33], off offset:2944
	s_nop 0
	global_load_dwordx4 v[32:35], v[42:43], off offset:1024
	global_load_dwordx4 v[36:39], v[42:43], off offset:3200
	v_addc_co_u32_e32 v55, vcc, 0, v41, vcc
	global_load_dwordx4 v[40:43], v[52:53], off offset:1280
	global_load_dwordx4 v[44:47], v[52:53], off offset:3456
	;; [unrolled: 1-line block ×3, first 2 shown]
	v_add_u32_e32 v52, 0, v56
	s_waitcnt vmcnt(12)
	ds_write_b128 v52, v[0:3]
	s_waitcnt vmcnt(11)
	ds_write_b128 v52, v[4:7] offset:2176
	s_waitcnt vmcnt(10)
	ds_write_b128 v52, v[8:11] offset:4352
	;; [unrolled: 2-line block ×12, first 2 shown]
.LBB0_13:
	s_or_b64 exec, exec, s[4:5]
	v_lshl_add_u32 v196, v114, 4, 0
	s_waitcnt lgkmcnt(0)
	s_barrier
	ds_read_b128 v[12:15], v196 offset:26624
	ds_read_b128 v[20:23], v196 offset:1664
	ds_read_b128 v[28:31], v196
	ds_read_b128 v[16:19], v196 offset:24960
	ds_read_b128 v[40:43], v196 offset:3328
	;; [unrolled: 1-line block ×4, first 2 shown]
	s_mov_b32 s16, 0x6c9a05f6
	s_mov_b32 s17, 0xbfe9895b
	;; [unrolled: 1-line block ×3, first 2 shown]
	s_waitcnt lgkmcnt(2)
	v_add_f64 v[126:127], v[40:41], -v[16:17]
	s_waitcnt lgkmcnt(0)
	v_add_f64 v[132:133], v[36:37], -v[24:25]
	v_add_f64 v[122:123], v[22:23], -v[14:15]
	;; [unrolled: 1-line block ×3, first 2 shown]
	s_mov_b32 s21, 0xbfc7851a
	s_mov_b32 s39, 0x3fc7851a
	;; [unrolled: 1-line block ×3, first 2 shown]
	ds_read_b128 v[32:35], v196 offset:21632
	ds_read_b128 v[44:47], v196 offset:6656
	v_mul_f64 v[10:11], v[126:127], s[16:17]
	ds_read_b128 v[52:55], v196 offset:8320
	ds_read_b128 v[48:51], v196 offset:19968
	;; [unrolled: 1-line block ×8, first 2 shown]
	buffer_store_dword v10, off, s[60:63], 0 ; 4-byte Folded Spill
	s_nop 0
	buffer_store_dword v11, off, s[60:63], 0 offset:4 ; 4-byte Folded Spill
	v_mul_f64 v[80:81], v[132:133], s[38:39]
	s_mov_b32 s4, 0x2a9d6da3
	s_mov_b32 s5, 0xbfe58eea
	v_add_f64 v[118:119], v[20:21], v[12:13]
	v_mul_f64 v[98:99], v[122:123], s[4:5]
	v_add_f64 v[128:129], v[42:43], -v[18:19]
	v_add_f64 v[156:157], v[22:23], v[14:15]
	v_mul_f64 v[108:109], v[120:121], s[4:5]
	buffer_store_dword v80, off, s[60:63], 0 offset:8 ; 4-byte Folded Spill
	s_nop 0
	buffer_store_dword v81, off, s[60:63], 0 offset:12 ; 4-byte Folded Spill
	s_mov_b32 s14, 0x75d4884
	s_mov_b32 s6, 0xeb564b22
	;; [unrolled: 1-line block ×4, first 2 shown]
	v_fma_f64 v[0:1], v[118:119], s[14:15], v[98:99]
	v_add_f64 v[124:125], v[40:41], v[16:17]
	v_mul_f64 v[96:97], v[128:129], s[6:7]
	v_fma_f64 v[2:3], v[156:157], s[14:15], -v[108:109]
	v_add_f64 v[148:149], v[42:43], v[18:19]
	v_mul_f64 v[106:107], v[126:127], s[6:7]
	v_add_f64 v[134:135], v[38:39], -v[26:27]
	s_mov_b32 s8, 0x3259b75e
	s_mov_b32 s9, 0x3fb79ee6
	v_add_f64 v[0:1], v[28:29], v[0:1]
	v_fma_f64 v[4:5], v[124:125], s[8:9], v[96:97]
	v_add_f64 v[2:3], v[30:31], v[2:3]
	v_add_f64 v[130:131], v[36:37], v[24:25]
	v_fma_f64 v[6:7], v[148:149], s[8:9], -v[106:107]
	v_mul_f64 v[102:103], v[134:135], s[16:17]
	v_add_f64 v[136:137], v[38:39], v[26:27]
	v_mul_f64 v[110:111], v[132:133], s[16:17]
	s_waitcnt lgkmcnt(8)
	v_add_f64 v[146:147], v[46:47], -v[34:35]
	v_add_f64 v[140:141], v[44:45], -v[32:33]
	s_mov_b32 s22, 0x6ed5f1bb
	s_mov_b32 s23, 0xbfe348c8
	v_add_f64 v[0:1], v[4:5], v[0:1]
	v_add_f64 v[2:3], v[6:7], v[2:3]
	v_fma_f64 v[4:5], v[130:131], s[22:23], v[102:103]
	v_fma_f64 v[6:7], v[136:137], s[22:23], -v[110:111]
	v_add_f64 v[138:139], v[44:45], v[32:33]
	v_mul_f64 v[100:101], v[146:147], s[20:21]
	v_add_f64 v[158:159], v[46:47], v[34:35]
	v_mul_f64 v[206:207], v[140:141], s[20:21]
	s_waitcnt lgkmcnt(6)
	v_add_f64 v[152:153], v[54:55], -v[50:51]
	v_add_f64 v[144:145], v[52:53], -v[48:49]
	s_mov_b32 s18, 0x7faef3
	s_mov_b32 s24, 0x4363dd80
	s_mov_b32 s19, 0xbfef7484
	s_mov_b32 s25, 0x3fe0d888
	v_add_f64 v[0:1], v[4:5], v[0:1]
	v_add_f64 v[2:3], v[6:7], v[2:3]
	v_fma_f64 v[4:5], v[138:139], s[18:19], v[100:101]
	v_fma_f64 v[6:7], v[158:159], s[18:19], -v[206:207]
	v_add_f64 v[142:143], v[52:53], v[48:49]
	v_mul_f64 v[104:105], v[152:153], s[24:25]
	v_add_f64 v[166:167], v[54:55], v[50:51]
	v_mul_f64 v[208:209], v[144:145], s[24:25]
	s_waitcnt lgkmcnt(4)
	v_add_f64 v[182:183], v[62:63], -v[58:59]
	v_add_f64 v[168:169], v[60:61], -v[56:57]
	s_mov_b32 s26, 0x910ea3b9
	s_mov_b32 s36, 0x923c349f
	;; [unrolled: 15-line block ×3, first 2 shown]
	s_mov_b32 s29, 0xbfd183b1
	s_mov_b32 s31, 0xbfeca52d
	;; [unrolled: 1-line block ×4, first 2 shown]
	v_add_f64 v[0:1], v[4:5], v[0:1]
	v_add_f64 v[2:3], v[6:7], v[2:3]
	v_fma_f64 v[4:5], v[164:165], s[28:29], v[197:198]
	v_fma_f64 v[6:7], v[188:189], s[28:29], -v[212:213]
	v_add_f64 v[172:173], v[68:69], v[64:65]
	v_mul_f64 v[199:200], v[184:185], s[40:41]
	v_add_f64 v[194:195], v[70:71], v[66:67]
	v_mul_f64 v[214:215], v[176:177], s[40:41]
	s_mov_b32 s34, 0x2b2883cd
	s_mov_b32 s35, 0x3fdc86fa
	v_add_f64 v[0:1], v[4:5], v[0:1]
	v_add_f64 v[2:3], v[6:7], v[2:3]
	v_mul_f64 v[218:219], v[122:123], s[30:31]
	v_fma_f64 v[4:5], v[172:173], s[34:35], v[199:200]
	v_mul_f64 v[226:227], v[120:121], s[30:31]
	v_fma_f64 v[6:7], v[194:195], s[34:35], -v[214:215]
	v_mul_f64 v[220:221], v[128:129], s[16:17]
	v_fma_f64 v[10:11], v[148:149], s[22:23], -v[10:11]
	v_mul_f64 v[224:225], v[134:135], s[38:39]
	s_waitcnt lgkmcnt(0)
	v_add_f64 v[202:203], v[78:79], -v[74:75]
	v_add_f64 v[186:187], v[76:77], -v[72:73]
	v_add_f64 v[0:1], v[4:5], v[0:1]
	v_fma_f64 v[4:5], v[118:119], s[34:35], v[218:219]
	v_add_f64 v[2:3], v[6:7], v[2:3]
	v_fma_f64 v[6:7], v[156:157], s[34:35], -v[226:227]
	v_fma_f64 v[8:9], v[124:125], s[22:23], v[220:221]
	v_mul_f64 v[222:223], v[146:147], s[36:37]
	v_mul_f64 v[230:231], v[140:141], s[36:37]
	;; [unrolled: 1-line block ×4, first 2 shown]
	v_add_f64 v[4:5], v[28:29], v[4:5]
	s_mov_b32 s52, 0x5d8e7cdc
	v_add_f64 v[6:7], v[30:31], v[6:7]
	s_mov_b32 s53, 0x3fd71e95
	s_mov_b32 s51, 0x3fe58eea
	;; [unrolled: 1-line block ×3, first 2 shown]
	v_add_f64 v[190:191], v[76:77], v[72:73]
	v_mul_f64 v[210:211], v[202:203], s[52:53]
	v_add_f64 v[4:5], v[8:9], v[4:5]
	v_fma_f64 v[8:9], v[130:131], s[18:19], v[224:225]
	v_add_f64 v[6:7], v[10:11], v[6:7]
	v_fma_f64 v[10:11], v[136:137], s[18:19], -v[80:81]
	v_add_f64 v[204:205], v[78:79], v[74:75]
	v_mul_f64 v[216:217], v[186:187], s[52:53]
	v_mul_f64 v[228:229], v[152:153], s[50:51]
	;; [unrolled: 1-line block ×3, first 2 shown]
	v_fma_f64 v[84:85], v[118:119], s[8:9], v[246:247]
	v_add_f64 v[4:5], v[8:9], v[4:5]
	v_fma_f64 v[8:9], v[138:139], s[28:29], v[222:223]
	v_add_f64 v[6:7], v[10:11], v[6:7]
	v_fma_f64 v[10:11], v[158:159], s[28:29], -v[230:231]
	v_mul_f64 v[248:249], v[128:129], s[20:21]
	v_fma_f64 v[86:87], v[156:157], s[8:9], -v[254:255]
	v_mul_f64 v[154:155], v[126:127], s[20:21]
	s_mov_b32 s44, 0x370991
	s_mov_b32 s45, 0x3fedd6d0
	v_fma_f64 v[80:81], v[190:191], s[44:45], v[210:211]
	v_fma_f64 v[82:83], v[204:205], s[44:45], -v[216:217]
	v_add_f64 v[4:5], v[8:9], v[4:5]
	v_add_f64 v[6:7], v[10:11], v[6:7]
	v_fma_f64 v[8:9], v[142:143], s[14:15], v[228:229]
	v_fma_f64 v[10:11], v[166:167], s[14:15], -v[232:233]
	v_add_f64 v[84:85], v[28:29], v[84:85]
	v_fma_f64 v[88:89], v[124:125], s[18:19], v[248:249]
	v_add_f64 v[86:87], v[30:31], v[86:87]
	v_fma_f64 v[90:91], v[148:149], s[18:19], -v[154:155]
	v_mul_f64 v[250:251], v[134:135], s[36:37]
	v_mul_f64 v[162:163], v[132:133], s[36:37]
	v_add_f64 v[0:1], v[80:81], v[0:1]
	v_add_f64 v[2:3], v[82:83], v[2:3]
	;; [unrolled: 1-line block ×6, first 2 shown]
	v_fma_f64 v[80:81], v[130:131], s[28:29], v[250:251]
	v_fma_f64 v[82:83], v[136:137], s[28:29], -v[162:163]
	v_mul_f64 v[252:253], v[146:147], s[52:53]
	v_mul_f64 v[174:175], v[140:141], s[52:53]
	s_mov_b32 s49, 0xbfd71e95
	s_mov_b32 s48, s52
	v_mul_f64 v[234:235], v[182:183], s[48:49]
	v_mul_f64 v[238:239], v[168:169], s[48:49]
	v_add_f64 v[8:9], v[80:81], v[8:9]
	v_add_f64 v[10:11], v[82:83], v[10:11]
	v_fma_f64 v[80:81], v[138:139], s[44:45], v[252:253]
	v_fma_f64 v[82:83], v[158:159], s[44:45], -v[174:175]
	v_mul_f64 v[150:151], v[152:153], s[30:31]
	v_mul_f64 v[180:181], v[144:145], s[30:31]
	s_mov_b32 s47, 0xbfe0d888
	s_mov_b32 s46, s24
	v_fma_f64 v[84:85], v[164:165], s[44:45], v[234:235]
	v_fma_f64 v[86:87], v[188:189], s[44:45], -v[238:239]
	v_add_f64 v[8:9], v[80:81], v[8:9]
	v_add_f64 v[10:11], v[82:83], v[10:11]
	v_fma_f64 v[82:83], v[142:143], s[34:35], v[150:151]
	v_fma_f64 v[88:89], v[166:167], s[34:35], -v[180:181]
	v_mul_f64 v[160:161], v[182:183], s[46:47]
	v_mul_f64 v[80:81], v[168:169], s[46:47]
	s_mov_b32 s55, 0x3fe9895b
	s_mov_b32 s54, s16
	v_add_f64 v[4:5], v[84:85], v[4:5]
	v_add_f64 v[6:7], v[86:87], v[6:7]
	v_mul_f64 v[236:237], v[184:185], s[6:7]
	v_mul_f64 v[242:243], v[176:177], s[6:7]
	v_add_f64 v[8:9], v[82:83], v[8:9]
	v_add_f64 v[10:11], v[88:89], v[10:11]
	v_fma_f64 v[84:85], v[164:165], s[26:27], v[160:161]
	v_fma_f64 v[86:87], v[188:189], s[26:27], -v[80:81]
	v_mul_f64 v[170:171], v[184:185], s[54:55]
	v_mul_f64 v[82:83], v[176:177], s[54:55]
	v_fma_f64 v[88:89], v[172:173], s[8:9], v[236:237]
	v_fma_f64 v[90:91], v[194:195], s[8:9], -v[242:243]
	v_mul_f64 v[240:241], v[202:203], s[46:47]
	v_mul_f64 v[244:245], v[186:187], s[46:47]
	v_add_f64 v[8:9], v[84:85], v[8:9]
	v_add_f64 v[10:11], v[86:87], v[10:11]
	v_fma_f64 v[84:85], v[172:173], s[22:23], v[170:171]
	v_fma_f64 v[86:87], v[194:195], s[22:23], -v[82:83]
	v_mul_f64 v[178:179], v[202:203], s[50:51]
	v_mul_f64 v[192:193], v[186:187], s[50:51]
	v_add_f64 v[4:5], v[88:89], v[4:5]
	v_add_f64 v[6:7], v[90:91], v[6:7]
	v_fma_f64 v[88:89], v[190:191], s[26:27], v[240:241]
	v_fma_f64 v[90:91], v[204:205], s[26:27], -v[244:245]
	v_add_f64 v[84:85], v[84:85], v[8:9]
	v_add_f64 v[86:87], v[86:87], v[10:11]
	v_fma_f64 v[92:93], v[190:191], s[14:15], v[178:179]
	v_fma_f64 v[94:95], v[204:205], s[14:15], -v[192:193]
	s_movk_i32 s33, 0x68
	v_cmp_gt_u32_e32 vcc, s33, v114
	v_add_f64 v[8:9], v[88:89], v[4:5]
	v_add_f64 v[10:11], v[90:91], v[6:7]
	s_waitcnt vmcnt(0)
	s_barrier
	v_add_f64 v[4:5], v[92:93], v[84:85]
	v_add_f64 v[6:7], v[94:95], v[86:87]
	s_and_saveexec_b64 s[42:43], vcc
	s_cbranch_execz .LBB0_15
; %bb.14:
	v_mul_f64 v[84:85], v[156:157], s[18:19]
	v_mul_f64 v[86:87], v[148:149], s[44:45]
	;; [unrolled: 1-line block ×3, first 2 shown]
	buffer_store_dword v96, off, s[60:63], 0 offset:112 ; 4-byte Folded Spill
	s_nop 0
	buffer_store_dword v97, off, s[60:63], 0 offset:116 ; 4-byte Folded Spill
	buffer_store_dword v98, off, s[60:63], 0 offset:152 ; 4-byte Folded Spill
	s_nop 0
	buffer_store_dword v99, off, s[60:63], 0 offset:156 ; 4-byte Folded Spill
	;; [unrolled: 3-line block ×5, first 2 shown]
	v_fma_f64 v[88:89], v[120:121], s[38:39], v[84:85]
	v_fma_f64 v[90:91], v[126:127], s[48:49], v[86:87]
	;; [unrolled: 1-line block ×3, first 2 shown]
	buffer_store_dword v106, off, s[60:63], 0 offset:168 ; 4-byte Folded Spill
	s_nop 0
	buffer_store_dword v107, off, s[60:63], 0 offset:172 ; 4-byte Folded Spill
	v_fma_f64 v[84:85], v[120:121], s[20:21], v[84:85]
	buffer_store_dword v108, off, s[60:63], 0 offset:176 ; 4-byte Folded Spill
	s_nop 0
	buffer_store_dword v109, off, s[60:63], 0 offset:180 ; 4-byte Folded Spill
	v_fma_f64 v[86:87], v[126:127], s[52:53], v[86:87]
	buffer_store_dword v110, off, s[60:63], 0 offset:160 ; 4-byte Folded Spill
	s_nop 0
	buffer_store_dword v111, off, s[60:63], 0 offset:164 ; 4-byte Folded Spill
	v_add_f64 v[88:89], v[30:31], v[88:89]
	buffer_store_dword v197, off, s[60:63], 0 offset:88 ; 4-byte Folded Spill
	s_nop 0
	buffer_store_dword v198, off, s[60:63], 0 offset:92 ; 4-byte Folded Spill
	buffer_store_dword v199, off, s[60:63], 0 offset:64 ; 4-byte Folded Spill
	s_nop 0
	buffer_store_dword v200, off, s[60:63], 0 offset:68 ; 4-byte Folded Spill
	s_mov_b32 s57, 0xbfeec746
	v_add_f64 v[84:85], v[30:31], v[84:85]
	s_mov_b32 s56, s36
	buffer_store_dword v206, off, s[60:63], 0 offset:128 ; 4-byte Folded Spill
	s_nop 0
	buffer_store_dword v207, off, s[60:63], 0 offset:132 ; 4-byte Folded Spill
	buffer_store_dword v208, off, s[60:63], 0 offset:136 ; 4-byte Folded Spill
	s_nop 0
	buffer_store_dword v209, off, s[60:63], 0 offset:140 ; 4-byte Folded Spill
	v_add_f64 v[88:89], v[90:91], v[88:89]
	v_mul_f64 v[90:91], v[122:123], s[20:21]
	s_mov_b32 s59, 0x3fefdd0d
	s_mov_b32 s58, s6
	v_add_f64 v[84:85], v[86:87], v[84:85]
	buffer_store_dword v218, off, s[60:63], 0 offset:192 ; 4-byte Folded Spill
	s_nop 0
	buffer_store_dword v219, off, s[60:63], 0 offset:196 ; 4-byte Folded Spill
	buffer_store_dword v216, off, s[60:63], 0 offset:184 ; 4-byte Folded Spill
	s_nop 0
	buffer_store_dword v217, off, s[60:63], 0 offset:188 ; 4-byte Folded Spill
	v_add_f64 v[22:23], v[30:31], v[22:23]
	v_add_f64 v[20:21], v[28:29], v[20:21]
	v_fma_f64 v[92:93], v[118:119], s[18:19], v[90:91]
	v_fma_f64 v[86:87], v[118:119], s[18:19], -v[90:91]
	v_fma_f64 v[90:91], v[124:125], s[44:45], -v[94:95]
	v_mul_f64 v[94:95], v[148:149], s[34:35]
	v_add_f64 v[22:23], v[22:23], v[42:43]
	v_add_f64 v[20:21], v[20:21], v[40:41]
	;; [unrolled: 1-line block ×4, first 2 shown]
	v_mul_f64 v[42:43], v[158:159], s[8:9]
	v_add_f64 v[22:23], v[22:23], v[38:39]
	v_add_f64 v[20:21], v[20:21], v[36:37]
	;; [unrolled: 1-line block ×3, first 2 shown]
	v_mul_f64 v[96:97], v[136:137], s[26:27]
	v_add_f64 v[86:87], v[90:91], v[86:87]
	v_mul_f64 v[38:39], v[166:167], s[28:29]
	v_add_f64 v[22:23], v[22:23], v[46:47]
	v_add_f64 v[20:21], v[20:21], v[44:45]
	v_mul_f64 v[44:45], v[188:189], s[22:23]
	v_fma_f64 v[98:99], v[132:133], s[24:25], v[96:97]
	v_fma_f64 v[90:91], v[132:133], s[46:47], v[96:97]
	v_mul_f64 v[96:97], v[136:137], s[8:9]
	v_fma_f64 v[46:47], v[144:145], s[36:37], v[38:39]
	v_fma_f64 v[38:39], v[144:145], s[56:57], v[38:39]
	v_add_f64 v[22:23], v[22:23], v[54:55]
	v_add_f64 v[52:53], v[20:21], v[52:53]
	v_mul_f64 v[54:55], v[194:195], s[26:27]
	v_add_f64 v[88:89], v[98:99], v[88:89]
	v_mul_f64 v[98:99], v[134:135], s[46:47]
	v_add_f64 v[84:85], v[90:91], v[84:85]
	v_add_f64 v[22:23], v[22:23], v[62:63]
	;; [unrolled: 1-line block ×3, first 2 shown]
	v_mul_f64 v[60:61], v[204:205], s[18:19]
	v_fma_f64 v[62:63], v[176:177], s[24:25], v[54:55]
	v_fma_f64 v[100:101], v[130:131], s[26:27], v[98:99]
	v_fma_f64 v[90:91], v[130:131], s[26:27], -v[98:99]
	v_mul_f64 v[98:99], v[158:159], s[22:23]
	v_add_f64 v[22:23], v[22:23], v[70:71]
	v_add_f64 v[52:53], v[52:53], v[68:69]
	v_mul_f64 v[68:69], v[122:123], s[48:49]
	v_mul_f64 v[70:71], v[182:183], s[16:17]
	v_add_f64 v[92:93], v[100:101], v[92:93]
	v_mul_f64 v[100:101], v[158:159], s[14:15]
	v_add_f64 v[86:87], v[90:91], v[86:87]
	v_add_f64 v[22:23], v[22:23], v[78:79]
	;; [unrolled: 1-line block ×3, first 2 shown]
	v_fma_f64 v[76:77], v[118:119], s[44:45], -v[68:69]
	v_mul_f64 v[78:79], v[134:135], s[30:31]
	v_fma_f64 v[68:69], v[118:119], s[44:45], v[68:69]
	v_fma_f64 v[102:103], v[140:141], s[4:5], v[100:101]
	;; [unrolled: 1-line block ×3, first 2 shown]
	v_mul_f64 v[100:101], v[166:167], s[44:45]
	v_add_f64 v[22:23], v[22:23], v[74:75]
	v_add_f64 v[52:53], v[52:53], v[72:73]
	;; [unrolled: 1-line block ×3, first 2 shown]
	v_fma_f64 v[76:77], v[130:131], s[34:35], -v[78:79]
	v_add_f64 v[88:89], v[102:103], v[88:89]
	v_mul_f64 v[102:103], v[146:147], s[50:51]
	v_add_f64 v[84:85], v[90:91], v[84:85]
	v_add_f64 v[22:23], v[22:23], v[66:67]
	;; [unrolled: 1-line block ×3, first 2 shown]
	v_fma_f64 v[66:67], v[130:131], s[34:35], v[78:79]
	v_fma_f64 v[104:105], v[138:139], s[14:15], v[102:103]
	v_add_f64 v[22:23], v[22:23], v[58:59]
	v_add_f64 v[52:53], v[52:53], v[56:57]
	;; [unrolled: 1-line block ×3, first 2 shown]
	v_mul_f64 v[104:105], v[166:167], s[22:23]
	v_add_f64 v[22:23], v[22:23], v[50:51]
	v_add_f64 v[48:49], v[52:53], v[48:49]
	v_fma_f64 v[106:107], v[144:145], s[54:55], v[104:105]
	v_fma_f64 v[90:91], v[144:145], s[16:17], v[104:105]
	v_mul_f64 v[104:105], v[194:195], s[14:15]
	v_add_f64 v[22:23], v[22:23], v[34:35]
	v_add_f64 v[32:33], v[48:49], v[32:33]
	v_fma_f64 v[48:49], v[176:177], s[46:47], v[54:55]
	v_add_f64 v[88:89], v[106:107], v[88:89]
	v_mul_f64 v[106:107], v[152:153], s[16:17]
	v_add_f64 v[84:85], v[90:91], v[84:85]
	v_add_f64 v[22:23], v[22:23], v[26:27]
	;; [unrolled: 1-line block ×3, first 2 shown]
	v_fma_f64 v[108:109], v[142:143], s[22:23], v[106:107]
	v_add_f64 v[18:19], v[22:23], v[18:19]
	v_add_f64 v[22:23], v[24:25], v[16:17]
	;; [unrolled: 1-line block ×3, first 2 shown]
	v_mul_f64 v[108:109], v[188:189], s[34:35]
	v_add_f64 v[24:25], v[18:19], v[14:15]
	v_add_f64 v[22:23], v[22:23], v[12:13]
	v_lshl_add_u32 v12, v114, 8, v196
	v_fma_f64 v[110:111], v[168:169], s[30:31], v[108:109]
	v_fma_f64 v[90:91], v[168:169], s[40:41], v[108:109]
	v_mul_f64 v[108:109], v[128:129], s[40:41]
	v_add_f64 v[88:89], v[110:111], v[88:89]
	v_mul_f64 v[110:111], v[182:183], s[40:41]
	v_add_f64 v[84:85], v[90:91], v[84:85]
	v_fma_f64 v[197:198], v[164:165], s[34:35], v[110:111]
	v_add_f64 v[92:93], v[197:198], v[92:93]
	v_mul_f64 v[197:198], v[194:195], s[28:29]
	v_fma_f64 v[199:200], v[176:177], s[36:37], v[197:198]
	v_fma_f64 v[90:91], v[176:177], s[56:57], v[197:198]
	v_add_f64 v[88:89], v[199:200], v[88:89]
	v_mul_f64 v[199:200], v[184:185], s[56:57]
	v_add_f64 v[84:85], v[90:91], v[84:85]
	v_fma_f64 v[90:91], v[138:139], s[14:15], -v[102:103]
	v_mul_f64 v[102:103], v[188:189], s[18:19]
	v_fma_f64 v[206:207], v[172:173], s[28:29], v[199:200]
	v_add_f64 v[86:87], v[90:91], v[86:87]
	v_fma_f64 v[90:91], v[142:143], s[22:23], -v[106:107]
	v_mul_f64 v[106:107], v[122:123], s[46:47]
	v_add_f64 v[92:93], v[206:207], v[92:93]
	v_mul_f64 v[206:207], v[204:205], s[8:9]
	v_add_f64 v[86:87], v[90:91], v[86:87]
	v_fma_f64 v[90:91], v[164:165], s[34:35], -v[110:111]
	v_fma_f64 v[110:111], v[124:125], s[34:35], v[108:109]
	v_fma_f64 v[208:209], v[186:187], s[6:7], v[206:207]
	v_add_f64 v[86:87], v[90:91], v[86:87]
	v_fma_f64 v[90:91], v[172:173], s[28:29], -v[199:200]
	v_add_f64 v[218:219], v[208:209], v[88:89]
	v_mul_f64 v[88:89], v[202:203], s[58:59]
	v_add_f64 v[90:91], v[90:91], v[86:87]
	v_fma_f64 v[86:87], v[186:187], s[58:59], v[206:207]
	v_fma_f64 v[208:209], v[190:191], s[8:9], v[88:89]
	v_fma_f64 v[88:89], v[190:191], s[8:9], -v[88:89]
	v_add_f64 v[86:87], v[86:87], v[84:85]
	v_add_f64 v[216:217], v[208:209], v[92:93]
	v_mul_f64 v[92:93], v[156:157], s[26:27]
	v_add_f64 v[84:85], v[88:89], v[90:91]
	v_fma_f64 v[90:91], v[126:127], s[30:31], v[94:95]
	buffer_store_dword v216, off, s[60:63], 0 offset:16 ; 4-byte Folded Spill
	s_nop 0
	buffer_store_dword v217, off, s[60:63], 0 offset:20 ; 4-byte Folded Spill
	buffer_store_dword v218, off, s[60:63], 0 offset:24 ; 4-byte Folded Spill
	;; [unrolled: 1-line block ×3, first 2 shown]
	v_fma_f64 v[88:89], v[120:121], s[24:25], v[92:93]
	buffer_store_dword v84, off, s[60:63], 0 offset:32 ; 4-byte Folded Spill
	s_nop 0
	buffer_store_dword v85, off, s[60:63], 0 offset:36 ; 4-byte Folded Spill
	buffer_store_dword v86, off, s[60:63], 0 offset:40 ; 4-byte Folded Spill
	;; [unrolled: 1-line block ×3, first 2 shown]
	v_mul_f64 v[86:87], v[204:205], s[28:29]
	buffer_store_dword v210, off, s[60:63], 0 offset:144 ; 4-byte Folded Spill
	s_nop 0
	buffer_store_dword v211, off, s[60:63], 0 offset:148 ; 4-byte Folded Spill
	v_mul_f64 v[210:211], v[202:203], s[56:57]
	v_mul_f64 v[216:217], v[204:205], s[34:35]
	;; [unrolled: 1-line block ×3, first 2 shown]
	v_add_f64 v[88:89], v[30:31], v[88:89]
	v_add_f64 v[88:89], v[90:91], v[88:89]
	v_fma_f64 v[90:91], v[132:133], s[58:59], v[96:97]
	v_add_f64 v[88:89], v[90:91], v[88:89]
	v_fma_f64 v[90:91], v[140:141], s[16:17], v[98:99]
	;; [unrolled: 2-line block ×6, first 2 shown]
	v_add_f64 v[90:91], v[28:29], v[90:91]
	v_add_f64 v[90:91], v[110:111], v[90:91]
	v_mul_f64 v[110:111], v[134:135], s[6:7]
	v_fma_f64 v[197:198], v[130:131], s[8:9], v[110:111]
	v_add_f64 v[90:91], v[197:198], v[90:91]
	v_mul_f64 v[197:198], v[146:147], s[54:55]
	v_fma_f64 v[199:200], v[138:139], s[22:23], v[197:198]
	;; [unrolled: 3-line block ×5, first 2 shown]
	v_add_f64 v[84:85], v[84:85], v[90:91]
	v_fma_f64 v[90:91], v[186:187], s[36:37], v[86:87]
	v_fma_f64 v[86:87], v[186:187], s[56:57], v[86:87]
	v_add_f64 v[90:91], v[90:91], v[88:89]
	v_fma_f64 v[88:89], v[190:191], s[28:29], v[210:211]
	v_add_f64 v[88:89], v[88:89], v[84:85]
	v_fma_f64 v[84:85], v[120:121], s[46:47], v[92:93]
	v_fma_f64 v[92:93], v[126:127], s[40:41], v[94:95]
	v_fma_f64 v[94:95], v[124:125], s[34:35], -v[108:109]
	buffer_store_dword v88, off, s[60:63], 0 offset:48 ; 4-byte Folded Spill
	s_nop 0
	buffer_store_dword v89, off, s[60:63], 0 offset:52 ; 4-byte Folded Spill
	buffer_store_dword v90, off, s[60:63], 0 offset:56 ; 4-byte Folded Spill
	;; [unrolled: 1-line block ×3, first 2 shown]
	v_add_f64 v[84:85], v[30:31], v[84:85]
	v_mul_f64 v[108:109], v[188:189], s[14:15]
	v_add_f64 v[84:85], v[92:93], v[84:85]
	v_fma_f64 v[92:93], v[132:133], s[6:7], v[96:97]
	v_fma_f64 v[96:97], v[190:191], s[28:29], -v[210:211]
	v_mul_f64 v[210:211], v[152:153], s[58:59]
	v_add_f64 v[84:85], v[92:93], v[84:85]
	v_fma_f64 v[92:93], v[140:141], s[54:55], v[98:99]
	v_add_f64 v[84:85], v[92:93], v[84:85]
	v_fma_f64 v[92:93], v[144:145], s[48:49], v[100:101]
	v_mul_f64 v[100:101], v[148:149], s[28:29]
	v_add_f64 v[84:85], v[92:93], v[84:85]
	v_fma_f64 v[92:93], v[168:169], s[20:21], v[102:103]
	v_mul_f64 v[102:103], v[136:137], s[44:45]
	;; [unrolled: 3-line block ×3, first 2 shown]
	v_add_f64 v[84:85], v[92:93], v[84:85]
	v_fma_f64 v[92:93], v[118:119], s[26:27], -v[106:107]
	v_mul_f64 v[106:107], v[166:167], s[8:9]
	v_add_f64 v[86:87], v[86:87], v[84:85]
	v_add_f64 v[92:93], v[28:29], v[92:93]
	;; [unrolled: 1-line block ×3, first 2 shown]
	v_fma_f64 v[94:95], v[130:131], s[8:9], -v[110:111]
	v_mul_f64 v[110:111], v[194:195], s[18:19]
	v_add_f64 v[92:93], v[94:95], v[92:93]
	v_fma_f64 v[94:95], v[138:139], s[22:23], -v[197:198]
	v_mul_f64 v[197:198], v[122:123], s[16:17]
	v_add_f64 v[92:93], v[94:95], v[92:93]
	v_fma_f64 v[94:95], v[142:143], s[44:45], -v[199:200]
	v_mul_f64 v[199:200], v[128:129], s[36:37]
	v_add_f64 v[92:93], v[94:95], v[92:93]
	v_fma_f64 v[94:95], v[164:165], s[18:19], -v[206:207]
	v_fma_f64 v[98:99], v[124:125], s[28:29], v[199:200]
	v_mul_f64 v[206:207], v[134:135], s[48:49]
	v_fma_f64 v[90:91], v[124:125], s[28:29], -v[199:200]
	v_mul_f64 v[199:200], v[194:195], s[44:45]
	v_add_f64 v[92:93], v[94:95], v[92:93]
	v_fma_f64 v[94:95], v[172:173], s[14:15], -v[208:209]
	v_mul_f64 v[208:209], v[146:147], s[46:47]
	v_add_f64 v[92:93], v[94:95], v[92:93]
	v_mov_b32_e32 v94, v226
	v_mov_b32_e32 v95, v227
	;; [unrolled: 1-line block ×6, first 2 shown]
	v_mul_f64 v[220:221], v[204:205], s[22:23]
	v_add_f64 v[84:85], v[96:97], v[92:93]
	buffer_store_dword v84, off, s[60:63], 0 offset:96 ; 4-byte Folded Spill
	s_nop 0
	buffer_store_dword v85, off, s[60:63], 0 offset:100 ; 4-byte Folded Spill
	buffer_store_dword v86, off, s[60:63], 0 offset:104 ; 4-byte Folded Spill
	;; [unrolled: 1-line block ×3, first 2 shown]
	v_mul_f64 v[84:85], v[156:157], s[22:23]
	v_fma_f64 v[96:97], v[126:127], s[56:57], v[100:101]
	buffer_store_dword v212, off, s[60:63], 0 offset:200 ; 4-byte Folded Spill
	s_nop 0
	buffer_store_dword v213, off, s[60:63], 0 offset:204 ; 4-byte Folded Spill
	v_mul_f64 v[212:213], v[182:183], s[4:5]
	buffer_store_dword v214, off, s[60:63], 0 offset:208 ; 4-byte Folded Spill
	s_nop 0
	buffer_store_dword v215, off, s[60:63], 0 offset:212 ; 4-byte Folded Spill
	v_mul_f64 v[214:215], v[184:185], s[20:21]
	v_fma_f64 v[86:87], v[120:121], s[54:55], v[84:85]
	v_fma_f64 v[84:85], v[120:121], s[16:17], v[84:85]
	v_add_f64 v[86:87], v[30:31], v[86:87]
	v_add_f64 v[84:85], v[30:31], v[84:85]
	;; [unrolled: 1-line block ×3, first 2 shown]
	v_fma_f64 v[96:97], v[132:133], s[52:53], v[102:103]
	v_add_f64 v[86:87], v[96:97], v[86:87]
	v_fma_f64 v[96:97], v[140:141], s[24:25], v[104:105]
	v_add_f64 v[86:87], v[96:97], v[86:87]
	;; [unrolled: 2-line block ×6, first 2 shown]
	v_add_f64 v[96:97], v[98:99], v[96:97]
	v_fma_f64 v[98:99], v[130:131], s[44:45], v[206:207]
	v_add_f64 v[96:97], v[98:99], v[96:97]
	v_fma_f64 v[98:99], v[138:139], s[26:27], v[208:209]
	;; [unrolled: 2-line block ×6, first 2 shown]
	v_add_f64 v[98:99], v[98:99], v[86:87]
	v_mul_f64 v[86:87], v[202:203], s[40:41]
	v_fma_f64 v[88:89], v[190:191], s[34:35], v[86:87]
	v_fma_f64 v[86:87], v[190:191], s[34:35], -v[86:87]
	v_add_f64 v[96:97], v[88:89], v[96:97]
	v_fma_f64 v[88:89], v[126:127], s[36:37], v[100:101]
	v_add_f64 v[84:85], v[88:89], v[84:85]
	v_fma_f64 v[88:89], v[132:133], s[48:49], v[102:103]
	;; [unrolled: 2-line block ×5, first 2 shown]
	v_mul_f64 v[108:109], v[158:159], s[34:35]
	v_add_f64 v[84:85], v[88:89], v[84:85]
	v_fma_f64 v[88:89], v[176:177], s[20:21], v[110:111]
	v_mul_f64 v[110:111], v[166:167], s[18:19]
	v_add_f64 v[84:85], v[88:89], v[84:85]
	v_fma_f64 v[88:89], v[118:119], s[22:23], -v[197:198]
	v_mul_f64 v[197:198], v[188:189], s[8:9]
	v_add_f64 v[88:89], v[28:29], v[88:89]
	v_add_f64 v[88:89], v[90:91], v[88:89]
	v_fma_f64 v[90:91], v[130:131], s[44:45], -v[206:207]
	v_mul_f64 v[206:207], v[122:123], s[56:57]
	v_mul_f64 v[122:123], v[146:147], s[6:7]
	v_add_f64 v[88:89], v[90:91], v[88:89]
	v_fma_f64 v[90:91], v[138:139], s[26:27], -v[208:209]
	v_mul_f64 v[208:209], v[128:129], s[24:25]
	v_mul_f64 v[128:129], v[128:129], s[4:5]
	v_fma_f64 v[58:59], v[138:139], s[8:9], v[122:123]
	v_add_f64 v[88:89], v[90:91], v[88:89]
	v_fma_f64 v[90:91], v[142:143], s[8:9], -v[210:211]
	v_fma_f64 v[106:107], v[124:125], s[26:27], v[208:209]
	v_mul_f64 v[210:211], v[134:135], s[50:51]
	v_fma_f64 v[74:75], v[124:125], s[14:15], v[128:129]
	v_add_f64 v[88:89], v[90:91], v[88:89]
	v_fma_f64 v[90:91], v[164:165], s[14:15], -v[212:213]
	v_mul_f64 v[212:213], v[146:147], s[30:31]
	v_add_f64 v[88:89], v[90:91], v[88:89]
	v_fma_f64 v[90:91], v[172:173], s[18:19], -v[214:215]
	v_mul_f64 v[214:215], v[152:153], s[20:21]
	v_add_f64 v[88:89], v[90:91], v[88:89]
	v_fma_f64 v[90:91], v[186:187], s[40:41], v[216:217]
	v_mul_f64 v[216:217], v[182:183], s[58:59]
	v_add_f64 v[100:101], v[86:87], v[88:89]
	v_add_f64 v[102:103], v[90:91], v[84:85]
	v_mul_f64 v[84:85], v[156:157], s[28:29]
	v_mul_f64 v[88:89], v[148:149], s[26:27]
	v_fma_f64 v[86:87], v[120:121], s[36:37], v[84:85]
	v_fma_f64 v[90:91], v[126:127], s[46:47], v[88:89]
	;; [unrolled: 1-line block ×4, first 2 shown]
	v_add_f64 v[86:87], v[30:31], v[86:87]
	v_add_f64 v[84:85], v[30:31], v[84:85]
	;; [unrolled: 1-line block ×3, first 2 shown]
	v_mul_f64 v[90:91], v[136:137], s[14:15]
	v_add_f64 v[84:85], v[88:89], v[84:85]
	v_fma_f64 v[104:105], v[132:133], s[4:5], v[90:91]
	v_fma_f64 v[88:89], v[132:133], s[50:51], v[90:91]
	v_fma_f64 v[90:91], v[124:125], s[26:27], -v[208:209]
	v_add_f64 v[86:87], v[104:105], v[86:87]
	v_fma_f64 v[104:105], v[140:141], s[40:41], v[108:109]
	v_add_f64 v[84:85], v[88:89], v[84:85]
	v_fma_f64 v[88:89], v[140:141], s[30:31], v[108:109]
	;; [unrolled: 2-line block ×6, first 2 shown]
	v_mul_f64 v[197:198], v[138:139], s[18:19]
	v_add_f64 v[86:87], v[104:105], v[86:87]
	v_fma_f64 v[104:105], v[176:177], s[52:53], v[199:200]
	v_add_f64 v[84:85], v[88:89], v[84:85]
	v_fma_f64 v[88:89], v[176:177], s[48:49], v[199:200]
	v_mul_f64 v[199:200], v[158:159], s[18:19]
	v_add_f64 v[86:87], v[104:105], v[86:87]
	v_fma_f64 v[104:105], v[118:119], s[28:29], v[206:207]
	v_add_f64 v[84:85], v[88:89], v[84:85]
	v_fma_f64 v[88:89], v[118:119], s[28:29], -v[206:207]
	v_mul_f64 v[206:207], v[166:167], s[26:27]
	v_add_f64 v[104:105], v[28:29], v[104:105]
	v_add_f64 v[88:89], v[28:29], v[88:89]
	;; [unrolled: 1-line block ×3, first 2 shown]
	v_fma_f64 v[106:107], v[130:131], s[14:15], v[210:211]
	v_add_f64 v[88:89], v[90:91], v[88:89]
	v_fma_f64 v[90:91], v[130:131], s[14:15], -v[210:211]
	v_add_f64 v[104:105], v[106:107], v[104:105]
	v_fma_f64 v[106:107], v[138:139], s[34:35], v[212:213]
	v_add_f64 v[88:89], v[90:91], v[88:89]
	v_fma_f64 v[90:91], v[138:139], s[34:35], -v[212:213]
	v_add_f64 v[104:105], v[106:107], v[104:105]
	v_fma_f64 v[106:107], v[142:143], s[18:19], v[214:215]
	v_add_f64 v[88:89], v[90:91], v[88:89]
	v_fma_f64 v[90:91], v[142:143], s[18:19], -v[214:215]
	v_mul_f64 v[214:215], v[172:173], s[34:35]
	v_add_f64 v[104:105], v[106:107], v[104:105]
	v_fma_f64 v[106:107], v[164:165], s[8:9], v[216:217]
	v_add_f64 v[88:89], v[90:91], v[88:89]
	v_fma_f64 v[90:91], v[164:165], s[8:9], -v[216:217]
	v_mul_f64 v[216:217], v[190:191], s[44:45]
	v_add_f64 v[104:105], v[106:107], v[104:105]
	v_fma_f64 v[106:107], v[172:173], s[44:45], v[218:219]
	v_add_f64 v[88:89], v[90:91], v[88:89]
	v_fma_f64 v[90:91], v[172:173], s[44:45], -v[218:219]
	v_add_f64 v[104:105], v[106:107], v[104:105]
	v_fma_f64 v[106:107], v[186:187], s[54:55], v[220:221]
	v_add_f64 v[88:89], v[90:91], v[88:89]
	v_fma_f64 v[90:91], v[186:187], s[16:17], v[220:221]
	v_add_f64 v[106:107], v[106:107], v[86:87]
	v_mul_f64 v[86:87], v[202:203], s[16:17]
	v_add_f64 v[110:111], v[90:91], v[84:85]
	v_mul_f64 v[84:85], v[136:137], s[28:29]
	v_mul_f64 v[90:91], v[136:137], s[18:19]
	v_fma_f64 v[92:93], v[190:191], s[22:23], v[86:87]
	v_fma_f64 v[86:87], v[190:191], s[22:23], -v[86:87]
	v_add_f64 v[84:85], v[162:163], v[84:85]
	v_mul_f64 v[162:163], v[142:143], s[14:15]
	v_add_f64 v[104:105], v[92:93], v[104:105]
	v_add_f64 v[108:109], v[86:87], v[88:89]
	v_mul_f64 v[86:87], v[156:157], s[8:9]
	v_mul_f64 v[88:89], v[148:149], s[18:19]
	buffer_load_dword v92, off, s[60:63], 0 offset:8 ; 4-byte Folded Reload
	buffer_load_dword v93, off, s[60:63], 0 offset:12 ; 4-byte Folded Reload
	v_add_f64 v[162:163], v[162:163], -v[228:229]
	v_add_f64 v[86:87], v[254:255], v[86:87]
	v_add_f64 v[88:89], v[154:155], v[88:89]
	v_mul_f64 v[154:155], v[130:131], s[18:19]
	v_add_f64 v[86:87], v[30:31], v[86:87]
	v_add_f64 v[154:155], v[154:155], -v[224:225]
	v_add_f64 v[86:87], v[88:89], v[86:87]
	v_mul_f64 v[88:89], v[158:159], s[44:45]
	v_add_f64 v[84:85], v[84:85], v[86:87]
	v_add_f64 v[88:89], v[174:175], v[88:89]
	v_mul_f64 v[86:87], v[166:167], s[34:35]
	v_mul_f64 v[174:175], v[164:165], s[44:45]
	v_add_f64 v[84:85], v[88:89], v[84:85]
	v_add_f64 v[86:87], v[180:181], v[86:87]
	v_mul_f64 v[88:89], v[188:189], s[26:27]
	v_mul_f64 v[180:181], v[172:173], s[8:9]
	v_add_f64 v[174:175], v[174:175], -v[234:235]
	v_add_f64 v[84:85], v[86:87], v[84:85]
	v_mul_f64 v[86:87], v[194:195], s[22:23]
	v_add_f64 v[80:81], v[80:81], v[88:89]
	v_mul_f64 v[88:89], v[124:125], s[18:19]
	v_add_f64 v[180:181], v[180:181], -v[236:237]
	v_add_f64 v[82:83], v[82:83], v[86:87]
	v_mul_f64 v[86:87], v[118:119], s[8:9]
	v_add_f64 v[80:81], v[80:81], v[84:85]
	v_add_f64 v[88:89], v[88:89], -v[248:249]
	v_mul_f64 v[84:85], v[204:205], s[14:15]
	v_add_f64 v[86:87], v[86:87], -v[246:247]
	v_add_f64 v[80:81], v[82:83], v[80:81]
	v_mul_f64 v[82:83], v[130:131], s[28:29]
	v_add_f64 v[84:85], v[192:193], v[84:85]
	v_mul_f64 v[192:193], v[130:131], s[22:23]
	v_add_f64 v[86:87], v[28:29], v[86:87]
	v_add_f64 v[82:83], v[82:83], -v[250:251]
	v_add_f64 v[80:81], v[84:85], v[80:81]
	s_waitcnt vmcnt(0)
	v_add_f64 v[90:91], v[92:93], v[90:91]
	v_mul_f64 v[92:93], v[156:157], s[34:35]
	v_add_f64 v[86:87], v[88:89], v[86:87]
	v_mul_f64 v[88:89], v[138:139], s[44:45]
	v_add_f64 v[92:93], v[94:95], v[92:93]
	v_add_f64 v[82:83], v[82:83], v[86:87]
	v_mul_f64 v[86:87], v[142:143], s[34:35]
	v_mul_f64 v[94:95], v[148:149], s[22:23]
	v_add_f64 v[88:89], v[88:89], -v[252:253]
	v_add_f64 v[92:93], v[30:31], v[92:93]
	v_add_f64 v[86:87], v[86:87], -v[150:151]
	buffer_load_dword v150, off, s[60:63], 0 ; 4-byte Folded Reload
	buffer_load_dword v151, off, s[60:63], 0 offset:4 ; 4-byte Folded Reload
	v_add_f64 v[82:83], v[88:89], v[82:83]
	v_mul_f64 v[88:89], v[164:165], s[26:27]
	v_add_f64 v[82:83], v[86:87], v[82:83]
	v_add_f64 v[88:89], v[88:89], -v[160:161]
	v_mul_f64 v[86:87], v[172:173], s[22:23]
	v_mul_f64 v[160:161], v[166:167], s[14:15]
	v_add_f64 v[82:83], v[88:89], v[82:83]
	v_add_f64 v[86:87], v[86:87], -v[170:171]
	v_add_f64 v[160:161], v[232:233], v[160:161]
	v_mul_f64 v[170:171], v[118:119], s[14:15]
	v_mul_f64 v[88:89], v[190:191], s[14:15]
	v_add_f64 v[82:83], v[86:87], v[82:83]
	v_mul_f64 v[86:87], v[158:159], s[28:29]
	v_add_f64 v[88:89], v[88:89], -v[178:179]
	v_mul_f64 v[178:179], v[124:125], s[8:9]
	v_add_f64 v[86:87], v[230:231], v[86:87]
	v_add_f64 v[78:79], v[88:89], v[82:83]
	s_waitcnt vmcnt(0)
	v_add_f64 v[94:95], v[150:151], v[94:95]
	buffer_load_dword v150, off, s[60:63], 0 offset:192 ; 4-byte Folded Reload
	buffer_load_dword v151, off, s[60:63], 0 offset:196 ; 4-byte Folded Reload
	;; [unrolled: 1-line block ×8, first 2 shown]
	v_add_f64 v[92:93], v[94:95], v[92:93]
	v_mul_f64 v[94:95], v[118:119], s[34:35]
	v_add_f64 v[90:91], v[90:91], v[92:93]
	v_mul_f64 v[92:93], v[188:189], s[44:45]
	;; [unrolled: 2-line block ×3, first 2 shown]
	v_add_f64 v[92:93], v[238:239], v[92:93]
	v_add_f64 v[86:87], v[160:161], v[86:87]
	v_mul_f64 v[160:161], v[204:205], s[26:27]
	v_add_f64 v[90:91], v[242:243], v[90:91]
	v_add_f64 v[86:87], v[92:93], v[86:87]
	;; [unrolled: 1-line block ×3, first 2 shown]
	v_mul_f64 v[92:93], v[190:191], s[26:27]
	v_add_f64 v[86:87], v[90:91], v[86:87]
	v_mul_f64 v[90:91], v[142:143], s[26:27]
	v_add_f64 v[92:93], v[92:93], -v[240:241]
	s_waitcnt vmcnt(6)
	v_add_f64 v[94:95], v[94:95], -v[150:151]
	v_mul_f64 v[150:151], v[124:125], s[22:23]
	v_add_f64 v[94:95], v[28:29], v[94:95]
	v_add_f64 v[150:151], v[150:151], -v[222:223]
	v_add_f64 v[94:95], v[150:151], v[94:95]
	v_mul_f64 v[150:151], v[138:139], s[28:29]
	v_add_f64 v[94:95], v[154:155], v[94:95]
	v_add_f64 v[150:151], v[150:151], -v[226:227]
	v_mul_f64 v[154:155], v[156:157], s[14:15]
	v_mul_f64 v[156:157], v[156:157], s[44:45]
	v_add_f64 v[94:95], v[150:151], v[94:95]
	v_mul_f64 v[150:151], v[148:149], s[8:9]
	s_waitcnt vmcnt(4)
	v_add_f64 v[154:155], v[208:209], v[154:155]
	v_mul_f64 v[148:149], v[148:149], s[14:15]
	v_mul_f64 v[208:209], v[164:165], s[28:29]
	v_add_f64 v[94:95], v[162:163], v[94:95]
	s_waitcnt vmcnt(0)
	v_add_f64 v[212:213], v[212:213], v[150:151]
	buffer_load_dword v150, off, s[60:63], 0 offset:152 ; 4-byte Folded Reload
	buffer_load_dword v151, off, s[60:63], 0 offset:156 ; 4-byte Folded Reload
	;; [unrolled: 1-line block ×4, first 2 shown]
	v_mul_f64 v[162:163], v[136:137], s[22:23]
	v_add_f64 v[154:155], v[30:31], v[154:155]
	v_mul_f64 v[136:137], v[136:137], s[34:35]
	v_fma_f64 v[118:119], v[126:127], s[4:5], v[148:149]
	v_add_f64 v[94:95], v[174:175], v[94:95]
	v_mul_f64 v[174:175], v[204:205], s[44:45]
	v_add_f64 v[154:155], v[212:213], v[154:155]
	v_add_f64 v[94:95], v[180:181], v[94:95]
	v_mul_f64 v[180:181], v[188:189], s[28:29]
	v_add_f64 v[174:175], v[210:211], v[174:175]
	v_mul_f64 v[210:211], v[194:195], s[34:35]
	s_waitcnt vmcnt(2)
	v_add_f64 v[170:171], v[170:171], -v[150:151]
	v_add_f64 v[150:151], v[160:161], v[86:87]
	buffer_load_dword v86, off, s[60:63], 0 offset:160 ; 4-byte Folded Reload
	buffer_load_dword v87, off, s[60:63], 0 offset:164 ; 4-byte Folded Reload
	buffer_load_dword v160, off, s[60:63], 0 offset:200 ; 4-byte Folded Reload
	buffer_load_dword v161, off, s[60:63], 0 offset:204 ; 4-byte Folded Reload
	s_waitcnt vmcnt(4)
	v_add_f64 v[84:85], v[84:85], v[210:211]
	v_add_f64 v[170:171], v[28:29], v[170:171]
	;; [unrolled: 1-line block ×3, first 2 shown]
	v_fma_f64 v[68:69], v[132:133], s[30:31], v[136:137]
	v_add_f64 v[28:29], v[74:75], v[28:29]
	v_add_f64 v[28:29], v[66:67], v[28:29]
	;; [unrolled: 1-line block ×3, first 2 shown]
	s_waitcnt vmcnt(2)
	v_add_f64 v[86:87], v[86:87], v[162:163]
	s_waitcnt vmcnt(0)
	v_add_f64 v[160:161], v[160:161], v[180:181]
	buffer_load_dword v162, off, s[60:63], 0 offset:136 ; 4-byte Folded Reload
	buffer_load_dword v163, off, s[60:63], 0 offset:140 ; 4-byte Folded Reload
	;; [unrolled: 1-line block ×4, first 2 shown]
	v_add_f64 v[86:87], v[86:87], v[154:155]
	s_waitcnt vmcnt(2)
	v_add_f64 v[162:163], v[162:163], v[206:207]
	s_waitcnt vmcnt(0)
	v_add_f64 v[178:179], v[178:179], -v[180:181]
	buffer_load_dword v180, off, s[60:63], 0 offset:128 ; 4-byte Folded Reload
	buffer_load_dword v181, off, s[60:63], 0 offset:132 ; 4-byte Folded Reload
	;; [unrolled: 1-line block ×4, first 2 shown]
	v_add_f64 v[170:171], v[178:179], v[170:171]
	v_fma_f64 v[178:179], v[126:127], s[50:51], v[148:149]
	v_add_f64 v[148:149], v[92:93], v[94:95]
	s_waitcnt vmcnt(2)
	v_add_f64 v[180:181], v[180:181], v[199:200]
	v_fma_f64 v[199:200], v[120:121], s[52:53], v[156:157]
	s_waitcnt vmcnt(0)
	v_add_f64 v[154:155], v[192:193], -v[154:155]
	v_fma_f64 v[120:121], v[120:121], s[48:49], v[156:157]
	v_add_f64 v[86:87], v[180:181], v[86:87]
	buffer_load_dword v180, off, s[60:63], 0 offset:80 ; 4-byte Folded Reload
	buffer_load_dword v181, off, s[60:63], 0 offset:84 ; 4-byte Folded Reload
	v_add_f64 v[192:193], v[30:31], v[199:200]
	v_add_f64 v[40:41], v[154:155], v[170:171]
	v_fma_f64 v[154:155], v[132:133], s[40:41], v[136:137]
	v_add_f64 v[30:31], v[30:31], v[120:121]
	v_fma_f64 v[120:121], v[124:125], s[14:15], -v[128:129]
	v_add_f64 v[86:87], v[162:163], v[86:87]
	buffer_load_dword v162, off, s[60:63], 0 offset:72 ; 4-byte Folded Reload
	buffer_load_dword v163, off, s[60:63], 0 offset:76 ; 4-byte Folded Reload
	v_add_f64 v[158:159], v[178:179], v[192:193]
	v_add_f64 v[30:31], v[118:119], v[30:31]
	;; [unrolled: 1-line block ×5, first 2 shown]
	buffer_load_dword v158, off, s[60:63], 0 offset:88 ; 4-byte Folded Reload
	buffer_load_dword v159, off, s[60:63], 0 offset:92 ; 4-byte Folded Reload
	v_add_f64 v[30:31], v[68:69], v[30:31]
	v_fma_f64 v[68:69], v[138:139], s[8:9], -v[122:123]
	v_add_f64 v[56:57], v[76:77], v[64:65]
	v_add_f64 v[84:85], v[84:85], v[86:87]
	buffer_load_dword v86, off, s[60:63], 0 offset:64 ; 4-byte Folded Reload
	buffer_load_dword v87, off, s[60:63], 0 offset:68 ; 4-byte Folded Reload
	v_add_f64 v[50:51], v[68:69], v[56:57]
	v_add_f64 v[20:21], v[174:175], v[84:85]
	v_mul_f64 v[84:85], v[202:203], s[20:21]
	s_waitcnt vmcnt(6)
	v_add_f64 v[180:181], v[197:198], -v[180:181]
	v_add_f64 v[36:37], v[180:181], v[40:41]
	v_fma_f64 v[40:41], v[140:141], s[58:59], v[42:43]
	s_waitcnt vmcnt(4)
	v_add_f64 v[90:91], v[90:91], -v[162:163]
	v_fma_f64 v[42:43], v[140:141], s[6:7], v[42:43]
	v_add_f64 v[40:41], v[40:41], v[154:155]
	v_add_f64 v[36:37], v[90:91], v[36:37]
	v_fma_f64 v[90:91], v[168:169], s[54:55], v[44:45]
	s_waitcnt vmcnt(2)
	v_add_f64 v[158:159], v[208:209], -v[158:159]
	v_add_f64 v[30:31], v[42:43], v[30:31]
	v_fma_f64 v[44:45], v[168:169], s[16:17], v[44:45]
	s_waitcnt vmcnt(0)
	v_add_f64 v[86:87], v[214:215], -v[86:87]
	v_add_f64 v[40:41], v[46:47], v[40:41]
	buffer_load_dword v46, off, s[60:63], 0 offset:144 ; 4-byte Folded Reload
	buffer_load_dword v47, off, s[60:63], 0 offset:148 ; 4-byte Folded Reload
	v_add_f64 v[36:37], v[158:159], v[36:37]
	v_add_f64 v[30:31], v[38:39], v[30:31]
	v_fma_f64 v[38:39], v[164:165], s[22:23], -v[70:71]
	v_add_f64 v[40:41], v[90:91], v[40:41]
	v_mul_f64 v[90:91], v[152:153], s[56:57]
	v_add_f64 v[36:37], v[86:87], v[36:37]
	v_mul_f64 v[86:87], v[184:185], s[46:47]
	v_add_f64 v[30:31], v[44:45], v[30:31]
	v_add_f64 v[40:41], v[62:63], v[40:41]
	v_fma_f64 v[42:43], v[142:143], s[28:29], -v[90:91]
	v_fma_f64 v[52:53], v[142:143], s[28:29], v[90:91]
	v_fma_f64 v[44:45], v[172:173], s[26:27], -v[86:87]
	v_add_f64 v[30:31], v[48:49], v[30:31]
	v_fma_f64 v[32:33], v[172:173], s[26:27], v[86:87]
	v_add_f64 v[34:35], v[42:43], v[50:51]
	v_fma_f64 v[42:43], v[164:165], s[22:23], v[70:71]
	v_add_f64 v[28:29], v[52:53], v[28:29]
	v_add_f64 v[26:27], v[38:39], v[34:35]
	v_fma_f64 v[34:35], v[186:187], s[20:21], v[60:61]
	v_fma_f64 v[38:39], v[190:191], s[18:19], -v[84:85]
	v_add_f64 v[28:29], v[42:43], v[28:29]
	v_fma_f64 v[42:43], v[186:187], s[38:39], v[60:61]
	v_add_f64 v[26:27], v[44:45], v[26:27]
	v_add_f64 v[16:17], v[34:35], v[30:31]
	v_fma_f64 v[44:45], v[190:191], s[18:19], v[84:85]
	v_add_f64 v[32:33], v[32:33], v[28:29]
	v_add_f64 v[28:29], v[42:43], v[40:41]
	;; [unrolled: 1-line block ×4, first 2 shown]
	s_waitcnt vmcnt(0)
	v_add_f64 v[46:47], v[216:217], -v[46:47]
	v_add_f64 v[18:19], v[46:47], v[36:37]
	ds_write_b128 v12, v[22:25]
	ds_write_b128 v12, v[14:17] offset:16
	ds_write_b128 v12, v[18:21] offset:32
	;; [unrolled: 1-line block ×6, first 2 shown]
	buffer_load_dword v13, off, s[60:63], 0 offset:96 ; 4-byte Folded Reload
	buffer_load_dword v14, off, s[60:63], 0 offset:100 ; 4-byte Folded Reload
	buffer_load_dword v15, off, s[60:63], 0 offset:104 ; 4-byte Folded Reload
	buffer_load_dword v16, off, s[60:63], 0 offset:108 ; 4-byte Folded Reload
	s_waitcnt vmcnt(0)
	ds_write_b128 v12, v[13:16] offset:112
	buffer_load_dword v13, off, s[60:63], 0 offset:32 ; 4-byte Folded Reload
	buffer_load_dword v14, off, s[60:63], 0 offset:36 ; 4-byte Folded Reload
	buffer_load_dword v15, off, s[60:63], 0 offset:40 ; 4-byte Folded Reload
	buffer_load_dword v16, off, s[60:63], 0 offset:44 ; 4-byte Folded Reload
	s_waitcnt vmcnt(0)
	ds_write_b128 v12, v[13:16] offset:128
	buffer_load_dword v13, off, s[60:63], 0 offset:16 ; 4-byte Folded Reload
	buffer_load_dword v14, off, s[60:63], 0 offset:20 ; 4-byte Folded Reload
	buffer_load_dword v15, off, s[60:63], 0 offset:24 ; 4-byte Folded Reload
	buffer_load_dword v16, off, s[60:63], 0 offset:28 ; 4-byte Folded Reload
	s_waitcnt vmcnt(0)
	ds_write_b128 v12, v[13:16] offset:144
	buffer_load_dword v13, off, s[60:63], 0 offset:48 ; 4-byte Folded Reload
	buffer_load_dword v14, off, s[60:63], 0 offset:52 ; 4-byte Folded Reload
	buffer_load_dword v15, off, s[60:63], 0 offset:56 ; 4-byte Folded Reload
	buffer_load_dword v16, off, s[60:63], 0 offset:60 ; 4-byte Folded Reload
	s_waitcnt vmcnt(0)
	ds_write_b128 v12, v[13:16] offset:160
	ds_write_b128 v12, v[96:99] offset:176
	ds_write_b128 v12, v[104:107] offset:192
	;; [unrolled: 1-line block ×6, first 2 shown]
.LBB0_15:
	s_or_b64 exec, exec, s[42:43]
	s_movk_i32 s4, 0xf1
	v_mul_lo_u16_sdwa v12, v114, s4 dst_sel:DWORD dst_unused:UNUSED_PAD src0_sel:BYTE_0 src1_sel:DWORD
	v_lshrrev_b16_e32 v36, 12, v12
	v_mul_lo_u16_e32 v12, 17, v36
	v_sub_u16_e32 v37, v114, v12
	v_mov_b32_e32 v12, 12
	v_mul_u32_u24_sdwa v12, v37, v12 dst_sel:DWORD dst_unused:UNUSED_PAD src0_sel:BYTE_0 src1_sel:DWORD
	v_lshlrev_b32_e32 v62, 4, v12
	s_load_dwordx2 s[2:3], s[2:3], 0x0
	s_waitcnt lgkmcnt(0)
	s_barrier
	global_load_dwordx4 v[12:15], v62, s[12:13]
	global_load_dwordx4 v[16:19], v62, s[12:13] offset:16
	global_load_dwordx4 v[20:23], v62, s[12:13] offset:32
	global_load_dwordx4 v[24:27], v62, s[12:13] offset:48
	global_load_dwordx4 v[28:31], v62, s[12:13] offset:64
	global_load_dwordx4 v[32:35], v62, s[12:13] offset:80
	global_load_dwordx4 v[38:41], v62, s[12:13] offset:96
	global_load_dwordx4 v[42:45], v62, s[12:13] offset:112
	global_load_dwordx4 v[46:49], v62, s[12:13] offset:128
	global_load_dwordx4 v[50:53], v62, s[12:13] offset:144
	global_load_dwordx4 v[54:57], v62, s[12:13] offset:160
	global_load_dwordx4 v[58:61], v62, s[12:13] offset:176
	ds_read_b128 v[62:65], v196
	ds_read_b128 v[66:69], v196 offset:2176
	ds_read_b128 v[70:73], v196 offset:4352
	;; [unrolled: 1-line block ×12, first 2 shown]
	s_mov_b32 s16, 0x2ef20147
	s_mov_b32 s22, 0x24c2f84
	;; [unrolled: 1-line block ×30, first 2 shown]
	v_mul_u32_u24_e32 v36, 0xdd0, v36
	s_waitcnt vmcnt(0) lgkmcnt(0)
	s_barrier
	v_mul_f64 v[110:111], v[68:69], v[14:15]
	v_mul_f64 v[14:15], v[66:67], v[14:15]
	;; [unrolled: 1-line block ×8, first 2 shown]
	v_fma_f64 v[66:67], v[66:67], v[12:13], -v[110:111]
	v_fma_f64 v[68:69], v[68:69], v[12:13], v[14:15]
	v_mul_f64 v[126:127], v[80:81], v[26:27]
	v_fma_f64 v[72:73], v[72:73], v[16:17], v[18:19]
	v_mul_f64 v[26:27], v[78:79], v[26:27]
	v_fma_f64 v[70:71], v[70:71], v[16:17], -v[122:123]
	v_fma_f64 v[14:15], v[88:89], v[32:33], v[34:35]
	v_fma_f64 v[74:75], v[74:75], v[20:21], -v[124:125]
	v_fma_f64 v[20:21], v[76:77], v[20:21], v[22:23]
	v_add_f64 v[34:35], v[64:65], v[68:69]
	v_fma_f64 v[12:13], v[86:87], v[32:33], -v[130:131]
	v_add_f64 v[32:33], v[62:63], v[66:67]
	v_mul_f64 v[128:129], v[84:85], v[30:31]
	v_mul_f64 v[30:31], v[82:83], v[30:31]
	v_fma_f64 v[22:23], v[78:79], v[24:25], -v[126:127]
	v_fma_f64 v[24:25], v[80:81], v[24:25], v[26:27]
	v_mul_f64 v[132:133], v[92:93], v[40:41]
	v_add_f64 v[34:35], v[34:35], v[72:73]
	v_mul_f64 v[40:41], v[90:91], v[40:41]
	v_add_f64 v[32:33], v[32:33], v[70:71]
	v_fma_f64 v[26:27], v[82:83], v[28:29], -v[128:129]
	v_fma_f64 v[28:29], v[84:85], v[28:29], v[30:31]
	v_mul_f64 v[134:135], v[96:97], v[44:45]
	v_mul_f64 v[44:45], v[94:95], v[44:45]
	;; [unrolled: 1-line block ×3, first 2 shown]
	v_add_f64 v[34:35], v[34:35], v[20:21]
	v_fma_f64 v[18:19], v[92:93], v[38:39], v[40:41]
	v_add_f64 v[32:33], v[32:33], v[74:75]
	v_mul_f64 v[48:49], v[98:99], v[48:49]
	v_mul_f64 v[142:143], v[120:121], v[60:61]
	;; [unrolled: 1-line block ×3, first 2 shown]
	v_fma_f64 v[16:17], v[90:91], v[38:39], -v[132:133]
	v_fma_f64 v[38:39], v[96:97], v[42:43], v[44:45]
	v_add_f64 v[34:35], v[34:35], v[24:25]
	v_mul_f64 v[138:139], v[104:105], v[52:53]
	v_add_f64 v[32:33], v[32:33], v[22:23]
	v_mul_f64 v[52:53], v[102:103], v[52:53]
	v_fma_f64 v[30:31], v[94:95], v[42:43], -v[134:135]
	v_fma_f64 v[40:41], v[98:99], v[46:47], -v[136:137]
	v_fma_f64 v[42:43], v[100:101], v[46:47], v[48:49]
	v_fma_f64 v[46:47], v[120:121], v[58:59], v[60:61]
	v_add_f64 v[34:35], v[34:35], v[28:29]
	v_mul_f64 v[140:141], v[108:109], v[56:57]
	v_add_f64 v[32:33], v[32:33], v[26:27]
	v_mul_f64 v[56:57], v[106:107], v[56:57]
	v_fma_f64 v[44:45], v[118:119], v[58:59], -v[142:143]
	v_fma_f64 v[48:49], v[102:103], v[50:51], -v[138:139]
	v_fma_f64 v[50:51], v[104:105], v[50:51], v[52:53]
	v_add_f64 v[60:61], v[68:69], -v[46:47]
	v_add_f64 v[34:35], v[34:35], v[14:15]
	v_fma_f64 v[52:53], v[106:107], v[54:55], -v[140:141]
	v_add_f64 v[32:33], v[32:33], v[12:13]
	v_fma_f64 v[54:55], v[108:109], v[54:55], v[56:57]
	v_add_f64 v[56:57], v[66:67], v[44:45]
	v_add_f64 v[66:67], v[66:67], -v[44:45]
	v_add_f64 v[58:59], v[68:69], v[46:47]
	v_mul_f64 v[90:91], v[60:61], s[16:17]
	v_add_f64 v[34:35], v[34:35], v[18:19]
	v_mul_f64 v[94:95], v[60:61], s[22:23]
	;; [unrolled: 2-line block ×3, first 2 shown]
	v_mul_f64 v[82:83], v[60:61], s[26:27]
	v_mul_f64 v[80:81], v[66:67], s[18:19]
	;; [unrolled: 1-line block ×4, first 2 shown]
	v_add_f64 v[34:35], v[34:35], v[38:39]
	v_mul_f64 v[88:89], v[66:67], s[34:35]
	v_add_f64 v[32:33], v[32:33], v[30:31]
	v_mul_f64 v[92:93], v[66:67], s[16:17]
	v_mul_f64 v[96:97], v[66:67], s[22:23]
	;; [unrolled: 1-line block ×4, first 2 shown]
	v_fma_f64 v[118:119], v[56:57], s[8:9], -v[90:91]
	v_add_f64 v[34:35], v[34:35], v[42:43]
	v_fma_f64 v[122:123], v[56:57], s[20:21], -v[94:95]
	v_add_f64 v[32:33], v[32:33], v[40:41]
	v_add_f64 v[68:69], v[70:71], v[52:53]
	;; [unrolled: 1-line block ×3, first 2 shown]
	v_add_f64 v[70:71], v[70:71], -v[52:53]
	v_add_f64 v[72:73], v[72:73], -v[54:55]
	v_fma_f64 v[100:101], v[56:57], s[14:15], -v[78:79]
	v_add_f64 v[34:35], v[34:35], v[50:51]
	v_fma_f64 v[102:103], v[58:59], s[14:15], v[80:81]
	v_add_f64 v[32:33], v[32:33], v[48:49]
	v_fma_f64 v[78:79], v[56:57], s[14:15], v[78:79]
	v_fma_f64 v[80:81], v[58:59], s[14:15], -v[80:81]
	v_fma_f64 v[104:105], v[56:57], s[6:7], -v[82:83]
	v_fma_f64 v[106:107], v[58:59], s[6:7], v[84:85]
	v_fma_f64 v[82:83], v[56:57], s[6:7], v[82:83]
	v_add_f64 v[34:35], v[34:35], v[54:55]
	v_fma_f64 v[84:85], v[58:59], s[6:7], -v[84:85]
	v_fma_f64 v[108:109], v[56:57], s[4:5], -v[86:87]
	v_fma_f64 v[110:111], v[58:59], s[4:5], v[88:89]
	v_fma_f64 v[86:87], v[56:57], s[4:5], v[86:87]
	v_fma_f64 v[88:89], v[58:59], s[4:5], -v[88:89]
	v_fma_f64 v[120:121], v[58:59], s[8:9], v[92:93]
	v_fma_f64 v[90:91], v[56:57], s[8:9], v[90:91]
	;; [unrolled: 3-line block ×3, first 2 shown]
	v_fma_f64 v[96:97], v[58:59], s[20:21], -v[96:97]
	v_add_f64 v[32:33], v[32:33], v[52:53]
	v_add_f64 v[52:53], v[62:63], v[118:119]
	;; [unrolled: 1-line block ×4, first 2 shown]
	v_fma_f64 v[46:47], v[56:57], s[24:25], -v[60:61]
	v_fma_f64 v[122:123], v[58:59], s[24:25], v[66:67]
	v_fma_f64 v[56:57], v[56:57], s[24:25], v[60:61]
	v_fma_f64 v[58:59], v[58:59], s[24:25], -v[66:67]
	v_mul_f64 v[98:99], v[72:73], s[26:27]
	v_add_f64 v[100:101], v[62:63], v[100:101]
	v_add_f64 v[102:103], v[64:65], v[102:103]
	;; [unrolled: 1-line block ×17, first 2 shown]
	v_mul_f64 v[44:45], v[70:71], s[26:27]
	v_add_f64 v[60:61], v[62:63], v[94:95]
	v_add_f64 v[66:67], v[64:65], v[96:97]
	;; [unrolled: 1-line block ×6, first 2 shown]
	v_mul_f64 v[62:63], v[72:73], s[16:17]
	v_mul_f64 v[64:65], v[70:71], s[16:17]
	v_fma_f64 v[94:95], v[68:69], s[6:7], -v[98:99]
	v_fma_f64 v[96:97], v[76:77], s[6:7], v[44:45]
	v_fma_f64 v[98:99], v[68:69], s[6:7], v[98:99]
	v_fma_f64 v[44:45], v[76:77], s[6:7], -v[44:45]
	s_mov_b32 s19, 0x3fddbe06
	v_fma_f64 v[124:125], v[68:69], s[8:9], -v[62:63]
	v_fma_f64 v[126:127], v[76:77], s[8:9], v[64:65]
	v_add_f64 v[94:95], v[94:95], v[100:101]
	v_add_f64 v[96:97], v[96:97], v[102:103]
	v_mul_f64 v[100:101], v[72:73], s[28:29]
	v_mul_f64 v[102:103], v[70:71], s[28:29]
	v_add_f64 v[78:79], v[98:99], v[78:79]
	v_add_f64 v[44:45], v[44:45], v[80:81]
	;; [unrolled: 1-line block ×4, first 2 shown]
	v_mul_f64 v[104:105], v[72:73], s[36:37]
	v_mul_f64 v[106:107], v[70:71], s[36:37]
	v_fma_f64 v[62:63], v[68:69], s[8:9], v[62:63]
	v_fma_f64 v[64:65], v[76:77], s[8:9], -v[64:65]
	v_fma_f64 v[128:129], v[68:69], s[24:25], -v[100:101]
	v_fma_f64 v[130:131], v[76:77], s[24:25], v[102:103]
	v_fma_f64 v[100:101], v[68:69], s[24:25], v[100:101]
	v_fma_f64 v[102:103], v[76:77], s[24:25], -v[102:103]
	v_fma_f64 v[124:125], v[68:69], s[20:21], -v[104:105]
	v_fma_f64 v[126:127], v[76:77], s[20:21], v[106:107]
	v_fma_f64 v[104:105], v[68:69], s[20:21], v[104:105]
	v_fma_f64 v[106:107], v[76:77], s[20:21], -v[106:107]
	v_add_f64 v[62:63], v[62:63], v[82:83]
	v_add_f64 v[64:65], v[64:65], v[84:85]
	;; [unrolled: 1-line block ×4, first 2 shown]
	v_mul_f64 v[108:109], v[72:73], s[30:31]
	v_mul_f64 v[110:111], v[70:71], s[30:31]
	v_add_f64 v[90:91], v[104:105], v[90:91]
	v_add_f64 v[92:93], v[106:107], v[92:93]
	v_add_f64 v[104:105], v[20:21], -v[50:51]
	v_add_f64 v[106:107], v[74:75], -v[48:49]
	v_add_f64 v[86:87], v[100:101], v[86:87]
	v_mul_f64 v[72:73], v[72:73], s[18:19]
	v_fma_f64 v[128:129], v[68:69], s[4:5], -v[108:109]
	v_fma_f64 v[100:101], v[76:77], s[4:5], v[110:111]
	v_mul_f64 v[70:71], v[70:71], s[18:19]
	v_add_f64 v[48:49], v[74:75], v[48:49]
	v_add_f64 v[20:21], v[20:21], v[50:51]
	v_mul_f64 v[50:51], v[104:105], s[34:35]
	v_mul_f64 v[74:75], v[106:107], s[34:35]
	v_add_f64 v[88:89], v[102:103], v[88:89]
	v_add_f64 v[102:103], v[128:129], v[118:119]
	;; [unrolled: 1-line block ×3, first 2 shown]
	v_fma_f64 v[108:109], v[68:69], s[4:5], v[108:109]
	v_fma_f64 v[110:111], v[76:77], s[4:5], -v[110:111]
	v_fma_f64 v[118:119], v[68:69], s[14:15], -v[72:73]
	v_fma_f64 v[120:121], v[76:77], s[14:15], v[70:71]
	v_fma_f64 v[68:69], v[68:69], s[14:15], v[72:73]
	v_fma_f64 v[70:71], v[76:77], s[14:15], -v[70:71]
	v_fma_f64 v[72:73], v[48:49], s[4:5], -v[50:51]
	v_fma_f64 v[76:77], v[20:21], s[4:5], v[74:75]
	v_fma_f64 v[50:51], v[48:49], s[4:5], v[50:51]
	v_fma_f64 v[74:75], v[20:21], s[4:5], -v[74:75]
	v_add_f64 v[66:67], v[110:111], v[66:67]
	v_add_f64 v[46:47], v[118:119], v[46:47]
	;; [unrolled: 1-line block ×6, first 2 shown]
	v_mul_f64 v[72:73], v[104:105], s[28:29]
	v_mul_f64 v[76:77], v[106:107], s[28:29]
	;; [unrolled: 1-line block ×4, first 2 shown]
	v_add_f64 v[50:51], v[50:51], v[78:79]
	v_add_f64 v[44:45], v[74:75], v[44:45]
	;; [unrolled: 1-line block ×4, first 2 shown]
	v_fma_f64 v[110:111], v[48:49], s[24:25], -v[72:73]
	v_fma_f64 v[118:119], v[20:21], s[24:25], v[76:77]
	v_fma_f64 v[72:73], v[48:49], s[24:25], v[72:73]
	v_fma_f64 v[76:77], v[20:21], s[24:25], -v[76:77]
	v_fma_f64 v[74:75], v[48:49], s[8:9], -v[94:95]
	v_fma_f64 v[78:79], v[20:21], s[8:9], v[96:97]
	v_add_f64 v[54:55], v[126:127], v[54:55]
	v_add_f64 v[108:109], v[120:121], v[122:123]
	v_add_f64 v[80:81], v[110:111], v[80:81]
	v_add_f64 v[98:99], v[118:119], v[98:99]
	v_add_f64 v[62:63], v[72:73], v[62:63]
	v_add_f64 v[64:65], v[76:77], v[64:65]
	v_mul_f64 v[72:73], v[104:105], s[18:19]
	v_mul_f64 v[76:77], v[106:107], s[18:19]
	v_add_f64 v[74:75], v[74:75], v[82:83]
	v_add_f64 v[78:79], v[78:79], v[84:85]
	v_fma_f64 v[82:83], v[48:49], s[8:9], v[94:95]
	v_fma_f64 v[84:85], v[20:21], s[8:9], -v[96:97]
	v_mul_f64 v[94:95], v[104:105], s[26:27]
	v_mul_f64 v[96:97], v[106:107], s[26:27]
	v_fma_f64 v[110:111], v[48:49], s[14:15], -v[72:73]
	v_fma_f64 v[118:119], v[20:21], s[14:15], v[76:77]
	v_fma_f64 v[72:73], v[48:49], s[14:15], v[72:73]
	v_fma_f64 v[76:77], v[20:21], s[14:15], -v[76:77]
	v_add_f64 v[82:83], v[82:83], v[86:87]
	v_add_f64 v[84:85], v[84:85], v[88:89]
	v_fma_f64 v[86:87], v[48:49], s[6:7], -v[94:95]
	v_fma_f64 v[88:89], v[20:21], s[6:7], v[96:97]
	v_fma_f64 v[94:95], v[48:49], s[6:7], v[94:95]
	v_fma_f64 v[96:97], v[20:21], s[6:7], -v[96:97]
	v_add_f64 v[72:73], v[72:73], v[90:91]
	v_add_f64 v[76:77], v[76:77], v[92:93]
	v_mul_f64 v[90:91], v[104:105], s[22:23]
	v_mul_f64 v[92:93], v[106:107], s[22:23]
	v_add_f64 v[86:87], v[86:87], v[102:103]
	v_add_f64 v[88:89], v[88:89], v[100:101]
	v_add_f64 v[100:101], v[24:25], -v[42:43]
	v_add_f64 v[102:103], v[22:23], -v[40:41]
	v_add_f64 v[22:23], v[22:23], v[40:41]
	v_add_f64 v[24:25], v[24:25], v[42:43]
	v_fma_f64 v[104:105], v[48:49], s[20:21], -v[90:91]
	v_fma_f64 v[106:107], v[20:21], s[20:21], v[92:93]
	v_fma_f64 v[48:49], v[48:49], s[20:21], v[90:91]
	v_fma_f64 v[20:21], v[20:21], s[20:21], -v[92:93]
	v_mul_f64 v[40:41], v[100:101], s[16:17]
	v_mul_f64 v[42:43], v[102:103], s[16:17]
	v_add_f64 v[60:61], v[94:95], v[60:61]
	v_add_f64 v[66:67], v[96:97], v[66:67]
	;; [unrolled: 1-line block ×6, first 2 shown]
	v_fma_f64 v[92:93], v[22:23], s[8:9], -v[40:41]
	v_fma_f64 v[94:95], v[24:25], s[8:9], v[42:43]
	v_mul_f64 v[56:57], v[100:101], s[36:37]
	v_mul_f64 v[58:59], v[102:103], s[36:37]
	v_fma_f64 v[40:41], v[22:23], s[8:9], v[40:41]
	v_fma_f64 v[42:43], v[24:25], s[8:9], -v[42:43]
	s_mov_b32 s37, 0x3fcea1e5
	s_mov_b32 s36, s28
	v_add_f64 v[68:69], v[92:93], v[68:69]
	v_add_f64 v[70:71], v[94:95], v[70:71]
	v_mul_f64 v[92:93], v[100:101], s[18:19]
	v_mul_f64 v[94:95], v[102:103], s[18:19]
	v_fma_f64 v[96:97], v[22:23], s[20:21], -v[56:57]
	v_fma_f64 v[104:105], v[24:25], s[20:21], v[58:59]
	v_add_f64 v[40:41], v[40:41], v[50:51]
	v_add_f64 v[42:43], v[42:43], v[44:45]
	v_fma_f64 v[44:45], v[22:23], s[20:21], v[56:57]
	v_fma_f64 v[50:51], v[24:25], s[20:21], -v[58:59]
	v_fma_f64 v[56:57], v[22:23], s[14:15], -v[92:93]
	v_fma_f64 v[58:59], v[24:25], s[14:15], v[94:95]
	v_add_f64 v[80:81], v[96:97], v[80:81]
	v_add_f64 v[96:97], v[104:105], v[98:99]
	v_mul_f64 v[98:99], v[100:101], s[34:35]
	v_mul_f64 v[104:105], v[102:103], s[34:35]
	v_add_f64 v[54:55], v[118:119], v[54:55]
	v_add_f64 v[44:45], v[44:45], v[62:63]
	;; [unrolled: 1-line block ×5, first 2 shown]
	v_fma_f64 v[62:63], v[22:23], s[14:15], v[92:93]
	v_fma_f64 v[64:65], v[24:25], s[14:15], -v[94:95]
	v_fma_f64 v[74:75], v[22:23], s[4:5], -v[98:99]
	v_fma_f64 v[78:79], v[24:25], s[4:5], v[104:105]
	v_mul_f64 v[92:93], v[100:101], s[36:37]
	v_mul_f64 v[94:95], v[102:103], s[36:37]
	s_mov_b32 s35, 0x3fea55e2
	s_mov_b32 s34, s26
	v_fma_f64 v[98:99], v[22:23], s[4:5], v[98:99]
	v_add_f64 v[62:63], v[62:63], v[82:83]
	v_add_f64 v[52:53], v[74:75], v[52:53]
	;; [unrolled: 1-line block ×3, first 2 shown]
	v_fma_f64 v[74:75], v[22:23], s[24:25], -v[92:93]
	v_fma_f64 v[78:79], v[24:25], s[24:25], v[94:95]
	v_add_f64 v[64:65], v[64:65], v[84:85]
	v_mul_f64 v[82:83], v[100:101], s[34:35]
	v_mul_f64 v[84:85], v[102:103], s[34:35]
	v_add_f64 v[90:91], v[106:107], v[108:109]
	v_fma_f64 v[104:105], v[24:25], s[4:5], -v[104:105]
	v_add_f64 v[72:73], v[98:99], v[72:73]
	v_add_f64 v[74:75], v[74:75], v[86:87]
	;; [unrolled: 1-line block ×3, first 2 shown]
	v_add_f64 v[86:87], v[28:29], -v[38:39]
	v_add_f64 v[88:89], v[26:27], -v[30:31]
	v_fma_f64 v[92:93], v[22:23], s[24:25], v[92:93]
	v_fma_f64 v[94:95], v[24:25], s[24:25], -v[94:95]
	v_fma_f64 v[98:99], v[22:23], s[6:7], -v[82:83]
	v_fma_f64 v[100:101], v[24:25], s[6:7], v[84:85]
	v_add_f64 v[26:27], v[26:27], v[30:31]
	v_add_f64 v[28:29], v[28:29], v[38:39]
	v_mul_f64 v[30:31], v[86:87], s[22:23]
	v_mul_f64 v[38:39], v[88:89], s[22:23]
	v_fma_f64 v[22:23], v[22:23], s[6:7], v[82:83]
	v_fma_f64 v[24:25], v[24:25], s[6:7], -v[84:85]
	v_add_f64 v[60:61], v[92:93], v[60:61]
	v_add_f64 v[82:83], v[100:101], v[90:91]
	;; [unrolled: 1-line block ×4, first 2 shown]
	v_fma_f64 v[84:85], v[26:27], s[20:21], -v[30:31]
	v_fma_f64 v[90:91], v[28:29], s[20:21], v[38:39]
	v_add_f64 v[22:23], v[22:23], v[48:49]
	v_add_f64 v[20:21], v[24:25], v[20:21]
	v_mul_f64 v[24:25], v[86:87], s[30:31]
	v_mul_f64 v[48:49], v[88:89], s[30:31]
	v_fma_f64 v[30:31], v[26:27], s[20:21], v[30:31]
	v_fma_f64 v[38:39], v[28:29], s[20:21], -v[38:39]
	v_add_f64 v[68:69], v[84:85], v[68:69]
	v_add_f64 v[70:71], v[90:91], v[70:71]
	v_mul_f64 v[84:85], v[86:87], s[26:27]
	v_mul_f64 v[90:91], v[88:89], s[26:27]
	v_fma_f64 v[92:93], v[26:27], s[4:5], -v[24:25]
	v_fma_f64 v[94:95], v[28:29], s[4:5], v[48:49]
	v_add_f64 v[30:31], v[30:31], v[40:41]
	v_add_f64 v[42:43], v[38:39], v[42:43]
	v_fma_f64 v[24:25], v[26:27], s[4:5], v[24:25]
	v_fma_f64 v[38:39], v[28:29], s[4:5], -v[48:49]
	v_fma_f64 v[40:41], v[26:27], s[6:7], -v[84:85]
	v_fma_f64 v[48:49], v[28:29], s[6:7], v[90:91]
	v_add_f64 v[80:81], v[92:93], v[80:81]
	v_add_f64 v[92:93], v[94:95], v[96:97]
	v_mul_f64 v[94:95], v[86:87], s[36:37]
	v_mul_f64 v[96:97], v[88:89], s[36:37]
	v_add_f64 v[24:25], v[24:25], v[44:45]
	v_add_f64 v[50:51], v[38:39], v[50:51]
	;; [unrolled: 1-line block ×4, first 2 shown]
	v_fma_f64 v[38:39], v[26:27], s[6:7], v[84:85]
	v_fma_f64 v[40:41], v[28:29], s[6:7], -v[90:91]
	v_fma_f64 v[44:45], v[26:27], s[24:25], -v[94:95]
	v_fma_f64 v[58:59], v[28:29], s[24:25], v[96:97]
	v_mul_f64 v[84:85], v[86:87], s[18:19]
	v_mul_f64 v[90:91], v[88:89], s[18:19]
	v_fma_f64 v[94:95], v[26:27], s[24:25], v[94:95]
	v_fma_f64 v[96:97], v[28:29], s[24:25], -v[96:97]
	v_add_f64 v[62:63], v[38:39], v[62:63]
	v_add_f64 v[64:65], v[40:41], v[64:65]
	;; [unrolled: 1-line block ×4, first 2 shown]
	v_fma_f64 v[38:39], v[26:27], s[14:15], -v[84:85]
	v_fma_f64 v[40:41], v[28:29], s[14:15], v[90:91]
	v_add_f64 v[58:59], v[94:95], v[72:73]
	v_add_f64 v[72:73], v[96:97], v[76:77]
	v_fma_f64 v[44:45], v[26:27], s[14:15], v[84:85]
	v_fma_f64 v[76:77], v[28:29], s[14:15], -v[90:91]
	v_mul_f64 v[84:85], v[86:87], s[16:17]
	v_mul_f64 v[86:87], v[88:89], s[16:17]
	v_add_f64 v[88:89], v[14:15], -v[18:19]
	v_add_f64 v[90:91], v[12:13], -v[16:17]
	v_add_f64 v[46:47], v[98:99], v[46:47]
	v_add_f64 v[74:75], v[38:39], v[74:75]
	;; [unrolled: 1-line block ×4, first 2 shown]
	v_fma_f64 v[38:39], v[26:27], s[8:9], -v[84:85]
	v_fma_f64 v[40:41], v[28:29], s[8:9], v[86:87]
	v_add_f64 v[76:77], v[12:13], v[16:17]
	v_add_f64 v[94:95], v[14:15], v[18:19]
	v_mul_f64 v[12:13], v[88:89], s[28:29]
	v_mul_f64 v[14:15], v[90:91], s[28:29]
	v_fma_f64 v[16:17], v[26:27], s[8:9], v[84:85]
	v_fma_f64 v[18:19], v[28:29], s[8:9], -v[86:87]
	v_mul_f64 v[28:29], v[90:91], s[18:19]
	v_mul_f64 v[26:27], v[88:89], s[18:19]
	v_add_f64 v[84:85], v[38:39], v[46:47]
	v_add_f64 v[82:83], v[40:41], v[82:83]
	v_fma_f64 v[38:39], v[76:77], s[24:25], -v[12:13]
	v_fma_f64 v[40:41], v[94:95], s[24:25], v[14:15]
	v_add_f64 v[86:87], v[16:17], v[22:23]
	v_add_f64 v[96:97], v[18:19], v[20:21]
	v_fma_f64 v[12:13], v[76:77], s[24:25], v[12:13]
	v_fma_f64 v[18:19], v[94:95], s[14:15], v[28:29]
	v_mul_f64 v[20:21], v[88:89], s[22:23]
	v_mul_f64 v[22:23], v[90:91], s[22:23]
	v_fma_f64 v[14:15], v[94:95], s[24:25], -v[14:15]
	v_fma_f64 v[16:17], v[76:77], s[14:15], -v[26:27]
	v_add_f64 v[60:61], v[44:45], v[60:61]
	v_add_f64 v[38:39], v[38:39], v[68:69]
	;; [unrolled: 1-line block ×5, first 2 shown]
	v_fma_f64 v[18:19], v[94:95], s[14:15], -v[28:29]
	v_fma_f64 v[28:29], v[76:77], s[20:21], -v[20:21]
	v_fma_f64 v[30:31], v[94:95], s[20:21], v[22:23]
	v_mul_f64 v[68:69], v[88:89], s[34:35]
	v_mul_f64 v[70:71], v[90:91], s[34:35]
	v_add_f64 v[14:15], v[14:15], v[42:43]
	v_add_f64 v[42:43], v[16:17], v[80:81]
	v_fma_f64 v[16:17], v[76:77], s[14:15], v[26:27]
	v_fma_f64 v[20:21], v[76:77], s[20:21], v[20:21]
	v_fma_f64 v[22:23], v[94:95], s[20:21], -v[22:23]
	v_add_f64 v[46:47], v[28:29], v[56:57]
	v_add_f64 v[48:49], v[30:31], v[48:49]
	v_fma_f64 v[28:29], v[76:77], s[6:7], -v[68:69]
	v_fma_f64 v[30:31], v[94:95], s[6:7], v[70:71]
	v_add_f64 v[26:27], v[18:19], v[50:51]
	v_add_f64 v[24:25], v[16:17], v[24:25]
	;; [unrolled: 1-line block ×4, first 2 shown]
	v_fma_f64 v[20:21], v[76:77], s[6:7], v[68:69]
	v_fma_f64 v[22:23], v[94:95], s[6:7], -v[70:71]
	v_mul_f64 v[56:57], v[88:89], s[16:17]
	v_mul_f64 v[62:63], v[90:91], s[16:17]
	v_add_f64 v[50:51], v[28:29], v[52:53]
	v_add_f64 v[52:53], v[30:31], v[54:55]
	v_mul_f64 v[54:55], v[88:89], s[30:31]
	v_mul_f64 v[64:65], v[90:91], s[30:31]
	v_add_f64 v[28:29], v[20:21], v[58:59]
	v_add_f64 v[30:31], v[22:23], v[72:73]
	v_fma_f64 v[20:21], v[76:77], s[8:9], -v[56:57]
	v_fma_f64 v[22:23], v[94:95], s[8:9], v[62:63]
	v_fma_f64 v[62:63], v[94:95], s[8:9], -v[62:63]
	v_fma_f64 v[58:59], v[76:77], s[8:9], v[56:57]
	;; [unrolled: 2-line block ×3, first 2 shown]
	v_fma_f64 v[72:73], v[76:77], s[4:5], v[54:55]
	v_fma_f64 v[64:65], v[94:95], s[4:5], -v[64:65]
	v_add_f64 v[54:55], v[20:21], v[74:75]
	v_add_f64 v[56:57], v[22:23], v[78:79]
	;; [unrolled: 1-line block ×3, first 2 shown]
	v_mov_b32_e32 v66, 4
	v_add_f64 v[20:21], v[58:59], v[60:61]
	v_add_f64 v[58:59], v[68:69], v[84:85]
	;; [unrolled: 1-line block ×3, first 2 shown]
	v_lshlrev_b32_sdwa v37, v66, v37 dst_sel:DWORD dst_unused:UNUSED_PAD src0_sel:DWORD src1_sel:BYTE_0
	v_add_f64 v[62:63], v[72:73], v[86:87]
	v_add_f64 v[64:65], v[64:65], v[96:97]
	v_add3_u32 v36, 0, v36, v37
	ds_write_b128 v36, v[32:35]
	ds_write_b128 v36, v[38:41] offset:272
	ds_write_b128 v36, v[42:45] offset:544
	;; [unrolled: 1-line block ×12, first 2 shown]
	s_waitcnt lgkmcnt(0)
	s_barrier
	ds_read_b128 v[32:35], v196
	ds_read_b128 v[60:63], v196 offset:3536
	ds_read_b128 v[56:59], v196 offset:7072
	;; [unrolled: 1-line block ×7, first 2 shown]
	s_movk_i32 s4, 0x55
	v_cmp_gt_u32_e32 vcc, s4, v114
	s_and_saveexec_b64 s[4:5], vcc
	s_cbranch_execz .LBB0_17
; %bb.16:
	ds_read_b128 v[20:23], v196 offset:2176
	ds_read_b128 v[28:31], v196 offset:5712
	ds_read_b128 v[16:19], v196 offset:9248
	ds_read_b128 v[24:27], v196 offset:12784
	ds_read_b128 v[12:15], v196 offset:16320
	ds_read_b128 v[4:7], v196 offset:19856
	ds_read_b128 v[8:11], v196 offset:23392
	ds_read_b128 v[0:3], v196 offset:26928
.LBB0_17:
	s_or_b64 exec, exec, s[4:5]
	v_mul_u32_u24_e32 v64, 7, v114
	v_lshlrev_b32_e32 v92, 4, v64
	global_load_dwordx4 v[64:67], v92, s[12:13] offset:3264
	global_load_dwordx4 v[68:71], v92, s[12:13] offset:3280
	;; [unrolled: 1-line block ×7, first 2 shown]
	s_mov_b32 s4, 0x667f3bcd
	s_mov_b32 s5, 0xbfe6a09e
	;; [unrolled: 1-line block ×4, first 2 shown]
	s_waitcnt vmcnt(0) lgkmcnt(0)
	s_barrier
	v_mul_f64 v[92:93], v[62:63], v[66:67]
	v_mul_f64 v[66:67], v[60:61], v[66:67]
	;; [unrolled: 1-line block ×14, first 2 shown]
	v_fma_f64 v[60:61], v[60:61], v[64:65], -v[92:93]
	v_fma_f64 v[62:63], v[62:63], v[64:65], v[66:67]
	v_fma_f64 v[56:57], v[56:57], v[68:69], -v[94:95]
	v_fma_f64 v[58:59], v[58:59], v[68:69], v[70:71]
	v_fma_f64 v[52:53], v[52:53], v[72:73], -v[96:97]
	v_fma_f64 v[54:55], v[54:55], v[72:73], v[74:75]
	v_fma_f64 v[44:45], v[44:45], v[76:77], -v[98:99]
	v_fma_f64 v[46:47], v[46:47], v[76:77], v[78:79]
	v_fma_f64 v[48:49], v[48:49], v[84:85], -v[102:103]
	v_fma_f64 v[50:51], v[50:51], v[84:85], v[86:87]
	v_fma_f64 v[36:37], v[36:37], v[80:81], -v[100:101]
	v_fma_f64 v[38:39], v[38:39], v[80:81], v[82:83]
	v_fma_f64 v[40:41], v[40:41], v[88:89], -v[104:105]
	v_fma_f64 v[42:43], v[42:43], v[88:89], v[90:91]
	v_add_f64 v[44:45], v[32:33], -v[44:45]
	v_add_f64 v[46:47], v[34:35], -v[46:47]
	;; [unrolled: 1-line block ×8, first 2 shown]
	v_fma_f64 v[32:33], v[32:33], 2.0, -v[44:45]
	v_fma_f64 v[34:35], v[34:35], 2.0, -v[46:47]
	;; [unrolled: 1-line block ×6, first 2 shown]
	v_add_f64 v[64:65], v[44:45], -v[50:51]
	v_add_f64 v[66:67], v[46:47], v[48:49]
	v_fma_f64 v[48:49], v[52:53], 2.0, -v[40:41]
	v_fma_f64 v[50:51], v[54:55], 2.0, -v[42:43]
	v_add_f64 v[42:43], v[36:37], -v[42:43]
	v_add_f64 v[40:41], v[38:39], v[40:41]
	v_add_f64 v[52:53], v[32:33], -v[56:57]
	v_add_f64 v[54:55], v[34:35], -v[58:59]
	v_fma_f64 v[68:69], v[44:45], 2.0, -v[64:65]
	v_fma_f64 v[70:71], v[46:47], 2.0, -v[66:67]
	v_add_f64 v[44:45], v[60:61], -v[48:49]
	v_add_f64 v[46:47], v[62:63], -v[50:51]
	v_fma_f64 v[48:49], v[36:37], 2.0, -v[42:43]
	v_fma_f64 v[50:51], v[38:39], 2.0, -v[40:41]
	v_fma_f64 v[36:37], v[42:43], s[6:7], v[64:65]
	v_fma_f64 v[38:39], v[40:41], s[6:7], v[66:67]
	v_fma_f64 v[56:57], v[32:33], 2.0, -v[52:53]
	v_fma_f64 v[58:59], v[34:35], 2.0, -v[54:55]
	;; [unrolled: 1-line block ×4, first 2 shown]
	v_fma_f64 v[72:73], v[48:49], s[4:5], v[68:69]
	v_fma_f64 v[74:75], v[50:51], s[4:5], v[70:71]
	v_add_f64 v[32:33], v[52:53], -v[46:47]
	v_add_f64 v[34:35], v[54:55], v[44:45]
	v_fma_f64 v[36:37], v[40:41], s[4:5], v[36:37]
	v_fma_f64 v[38:39], v[42:43], s[6:7], v[38:39]
	v_add_f64 v[40:41], v[56:57], -v[60:61]
	v_add_f64 v[42:43], v[58:59], -v[62:63]
	v_fma_f64 v[44:45], v[50:51], s[4:5], v[72:73]
	v_fma_f64 v[46:47], v[48:49], s[6:7], v[74:75]
	v_fma_f64 v[48:49], v[52:53], 2.0, -v[32:33]
	v_fma_f64 v[50:51], v[54:55], 2.0, -v[34:35]
	;; [unrolled: 1-line block ×8, first 2 shown]
	ds_write_b128 v196, v[32:35] offset:21216
	ds_write_b128 v196, v[48:51] offset:7072
	;; [unrolled: 1-line block ×5, first 2 shown]
	ds_write_b128 v196, v[56:59]
	ds_write_b128 v196, v[60:63] offset:3536
	ds_write_b128 v196, v[36:39] offset:24752
	s_and_saveexec_b64 s[8:9], vcc
	s_cbranch_execz .LBB0_19
; %bb.18:
	v_add_u32_e32 v32, 0x88, v114
	v_add_u32_e32 v33, 0xffffffab, v114
	v_cndmask_b32_e32 v32, v33, v32, vcc
	v_mul_i32_i24_e32 v32, 7, v32
	v_mov_b32_e32 v33, 0
	v_lshlrev_b64 v[32:33], 4, v[32:33]
	v_mov_b32_e32 v34, s13
	v_add_co_u32_e32 v60, vcc, s12, v32
	v_addc_co_u32_e32 v61, vcc, v34, v33, vcc
	global_load_dwordx4 v[32:35], v[60:61], off offset:3280
	global_load_dwordx4 v[36:39], v[60:61], off offset:3344
	;; [unrolled: 1-line block ×7, first 2 shown]
	s_waitcnt vmcnt(6)
	v_mul_f64 v[60:61], v[18:19], v[34:35]
	s_waitcnt vmcnt(5)
	v_mul_f64 v[62:63], v[10:11], v[38:39]
	;; [unrolled: 2-line block ×7, first 2 shown]
	v_mul_f64 v[46:47], v[28:29], v[46:47]
	v_mul_f64 v[50:51], v[4:5], v[50:51]
	;; [unrolled: 1-line block ×7, first 2 shown]
	v_fma_f64 v[16:17], v[16:17], v[32:33], -v[60:61]
	v_fma_f64 v[8:9], v[8:9], v[36:37], -v[62:63]
	v_fma_f64 v[14:15], v[14:15], v[40:41], v[64:65]
	v_fma_f64 v[28:29], v[28:29], v[44:45], -v[66:67]
	v_fma_f64 v[4:5], v[4:5], v[48:49], -v[68:69]
	v_fma_f64 v[26:27], v[26:27], v[52:53], v[70:71]
	v_fma_f64 v[30:31], v[30:31], v[44:45], v[46:47]
	;; [unrolled: 1-line block ×3, first 2 shown]
	v_fma_f64 v[24:25], v[24:25], v[52:53], -v[54:55]
	v_fma_f64 v[0:1], v[0:1], v[56:57], -v[58:59]
	v_fma_f64 v[18:19], v[18:19], v[32:33], v[34:35]
	v_fma_f64 v[10:11], v[10:11], v[36:37], v[38:39]
	;; [unrolled: 1-line block ×3, first 2 shown]
	v_fma_f64 v[12:13], v[12:13], v[40:41], -v[42:43]
	v_add_f64 v[8:9], v[16:17], -v[8:9]
	v_add_f64 v[14:15], v[22:23], -v[14:15]
	;; [unrolled: 1-line block ×8, first 2 shown]
	v_add_f64 v[32:33], v[14:15], v[8:9]
	v_fma_f64 v[22:23], v[22:23], 2.0, -v[14:15]
	v_add_f64 v[34:35], v[6:7], v[0:1]
	v_fma_f64 v[28:29], v[28:29], 2.0, -v[4:5]
	v_fma_f64 v[18:19], v[18:19], 2.0, -v[10:11]
	;; [unrolled: 1-line block ×7, first 2 shown]
	v_add_f64 v[2:3], v[4:5], -v[2:3]
	v_add_f64 v[16:17], v[12:13], -v[10:11]
	;; [unrolled: 1-line block ×3, first 2 shown]
	v_fma_f64 v[36:37], v[14:15], 2.0, -v[32:33]
	v_fma_f64 v[18:19], v[6:7], 2.0, -v[34:35]
	v_add_f64 v[0:1], v[28:29], -v[0:1]
	v_add_f64 v[10:11], v[24:25], -v[26:27]
	;; [unrolled: 1-line block ×3, first 2 shown]
	v_fma_f64 v[8:9], v[4:5], 2.0, -v[2:3]
	v_fma_f64 v[38:39], v[12:13], 2.0, -v[16:17]
	v_fma_f64 v[4:5], v[34:35], s[6:7], v[32:33]
	v_fma_f64 v[12:13], v[2:3], s[6:7], v[16:17]
	v_fma_f64 v[14:15], v[18:19], s[4:5], v[36:37]
	v_fma_f64 v[40:41], v[22:23], 2.0, -v[30:31]
	v_fma_f64 v[22:23], v[24:25], 2.0, -v[10:11]
	v_fma_f64 v[24:25], v[20:21], 2.0, -v[26:27]
	v_fma_f64 v[20:21], v[28:29], 2.0, -v[0:1]
	v_fma_f64 v[28:29], v[8:9], s[4:5], v[38:39]
	v_fma_f64 v[2:3], v[2:3], s[6:7], v[4:5]
	v_add_f64 v[6:7], v[30:31], v[0:1]
	v_add_f64 v[4:5], v[26:27], -v[10:11]
	v_fma_f64 v[0:1], v[34:35], s[4:5], v[12:13]
	v_fma_f64 v[10:11], v[8:9], s[6:7], v[14:15]
	v_add_f64 v[14:15], v[40:41], -v[22:23]
	v_add_f64 v[12:13], v[24:25], -v[20:21]
	v_fma_f64 v[8:9], v[18:19], s[4:5], v[28:29]
	v_fma_f64 v[18:19], v[32:33], 2.0, -v[2:3]
	v_fma_f64 v[22:23], v[30:31], 2.0, -v[6:7]
	;; [unrolled: 1-line block ×8, first 2 shown]
	ds_write_b128 v196, v[4:7] offset:23392
	ds_write_b128 v196, v[20:23] offset:9248
	;; [unrolled: 1-line block ×8, first 2 shown]
.LBB0_19:
	s_or_b64 exec, exec, s[8:9]
	s_waitcnt lgkmcnt(0)
	s_barrier
	ds_read_b128 v[4:7], v196
	s_add_u32 s6, s12, 0x6d70
	v_lshlrev_b32_e32 v0, 4, v114
	s_addc_u32 s7, s13, 0
	v_sub_u32_e32 v12, 0, v0
	v_cmp_ne_u32_e32 vcc, 0, v114
                                        ; implicit-def: $vgpr2_vgpr3
                                        ; implicit-def: $vgpr8_vgpr9
                                        ; implicit-def: $vgpr10_vgpr11
	s_and_saveexec_b64 s[4:5], vcc
	s_xor_b64 s[4:5], exec, s[4:5]
	s_cbranch_execz .LBB0_21
; %bb.20:
	v_mov_b32_e32 v115, 0
	v_lshlrev_b64 v[0:1], 4, v[114:115]
	v_mov_b32_e32 v2, s7
	v_add_co_u32_e32 v0, vcc, s6, v0
	v_addc_co_u32_e32 v1, vcc, v2, v1, vcc
	global_load_dwordx4 v[0:3], v[0:1], off
	ds_read_b128 v[8:11], v12 offset:28288
	s_waitcnt lgkmcnt(0)
	v_add_f64 v[13:14], v[4:5], -v[8:9]
	v_add_f64 v[15:16], v[6:7], v[10:11]
	v_add_f64 v[6:7], v[6:7], -v[10:11]
	v_add_f64 v[4:5], v[4:5], v[8:9]
	v_mul_f64 v[10:11], v[13:14], 0.5
	v_mul_f64 v[13:14], v[15:16], 0.5
	;; [unrolled: 1-line block ×3, first 2 shown]
	s_waitcnt vmcnt(0)
	v_mul_f64 v[8:9], v[10:11], v[2:3]
	v_fma_f64 v[15:16], v[13:14], v[2:3], v[6:7]
	v_fma_f64 v[2:3], v[13:14], v[2:3], -v[6:7]
	v_fma_f64 v[17:18], v[4:5], 0.5, v[8:9]
	v_fma_f64 v[4:5], v[4:5], 0.5, -v[8:9]
	v_fma_f64 v[8:9], -v[0:1], v[10:11], v[15:16]
	v_fma_f64 v[2:3], -v[0:1], v[10:11], v[2:3]
	v_mov_b32_e32 v10, v114
	v_mov_b32_e32 v11, v115
	v_fma_f64 v[6:7], v[13:14], v[0:1], v[17:18]
	v_fma_f64 v[0:1], -v[13:14], v[0:1], v[4:5]
                                        ; implicit-def: $vgpr4_vgpr5
	ds_write_b64 v196, v[6:7]
.LBB0_21:
	s_andn2_saveexec_b64 s[4:5], s[4:5]
	s_cbranch_execz .LBB0_23
; %bb.22:
	s_waitcnt lgkmcnt(0)
	v_add_f64 v[2:3], v[4:5], v[6:7]
	v_mov_b32_e32 v15, 0
	ds_read_b64 v[13:14], v15 offset:14152
	v_add_f64 v[0:1], v[4:5], -v[6:7]
	v_mov_b32_e32 v8, 0
	v_mov_b32_e32 v10, 0
	;; [unrolled: 1-line block ×3, first 2 shown]
	s_waitcnt lgkmcnt(0)
	v_xor_b32_e32 v14, 0x80000000, v14
	ds_write_b64 v15, v[13:14] offset:14152
	ds_write_b64 v196, v[2:3]
	v_mov_b32_e32 v2, v8
	v_mov_b32_e32 v11, 0
	;; [unrolled: 1-line block ×3, first 2 shown]
.LBB0_23:
	s_or_b64 exec, exec, s[4:5]
	s_waitcnt lgkmcnt(0)
	v_lshlrev_b64 v[4:5], 4, v[10:11]
	v_mov_b32_e32 v6, s7
	v_add_co_u32_e32 v4, vcc, s6, v4
	v_addc_co_u32_e32 v5, vcc, v6, v5, vcc
	global_load_dwordx4 v[13:16], v[4:5], off offset:2176
	s_movk_i32 s4, 0x1000
	v_add_co_u32_e32 v10, vcc, s4, v4
	v_addc_co_u32_e32 v11, vcc, 0, v5, vcc
	global_load_dwordx4 v[17:20], v[10:11], off offset:256
	ds_write_b64 v196, v[8:9] offset:8
	ds_write_b128 v12, v[0:3] offset:28288
	ds_read_b128 v[0:3], v196 offset:2176
	ds_read_b128 v[6:9], v12 offset:26112
	s_movk_i32 s4, 0x2000
	s_waitcnt lgkmcnt(0)
	v_add_f64 v[21:22], v[0:1], -v[6:7]
	v_add_f64 v[23:24], v[2:3], v[8:9]
	v_add_f64 v[2:3], v[2:3], -v[8:9]
	v_add_f64 v[0:1], v[0:1], v[6:7]
	v_mul_f64 v[21:22], v[21:22], 0.5
	v_mul_f64 v[23:24], v[23:24], 0.5
	;; [unrolled: 1-line block ×3, first 2 shown]
	s_waitcnt vmcnt(1)
	v_mul_f64 v[6:7], v[21:22], v[15:16]
	v_fma_f64 v[8:9], v[23:24], v[15:16], v[2:3]
	v_fma_f64 v[15:16], v[23:24], v[15:16], -v[2:3]
	v_fma_f64 v[25:26], v[0:1], 0.5, v[6:7]
	v_fma_f64 v[27:28], v[0:1], 0.5, -v[6:7]
	global_load_dwordx4 v[0:3], v[10:11], off offset:2432
	v_fma_f64 v[8:9], -v[13:14], v[21:22], v[8:9]
	v_fma_f64 v[15:16], -v[13:14], v[21:22], v[15:16]
	v_fma_f64 v[6:7], v[23:24], v[13:14], v[25:26]
	v_fma_f64 v[13:14], -v[23:24], v[13:14], v[27:28]
	v_add_co_u32_e32 v27, vcc, s4, v4
	v_addc_co_u32_e32 v28, vcc, 0, v5, vcc
	ds_write_b128 v196, v[6:9] offset:2176
	ds_write_b128 v12, v[13:16] offset:26112
	ds_read_b128 v[6:9], v196 offset:4352
	ds_read_b128 v[13:16], v12 offset:23936
	s_movk_i32 s4, 0x44
	v_cmp_gt_u32_e32 vcc, s4, v114
	s_waitcnt lgkmcnt(0)
	v_add_f64 v[10:11], v[6:7], -v[13:14]
	v_add_f64 v[21:22], v[8:9], v[15:16]
	v_add_f64 v[8:9], v[8:9], -v[15:16]
	v_add_f64 v[6:7], v[6:7], v[13:14]
	v_mul_f64 v[10:11], v[10:11], 0.5
	v_mul_f64 v[21:22], v[21:22], 0.5
	;; [unrolled: 1-line block ×3, first 2 shown]
	s_waitcnt vmcnt(1)
	v_mul_f64 v[13:14], v[10:11], v[19:20]
	v_fma_f64 v[15:16], v[21:22], v[19:20], v[8:9]
	v_fma_f64 v[19:20], v[21:22], v[19:20], -v[8:9]
	v_fma_f64 v[23:24], v[6:7], 0.5, v[13:14]
	v_fma_f64 v[25:26], v[6:7], 0.5, -v[13:14]
	global_load_dwordx4 v[6:9], v[27:28], off offset:512
	v_fma_f64 v[15:16], -v[17:18], v[10:11], v[15:16]
	v_fma_f64 v[19:20], -v[17:18], v[10:11], v[19:20]
	v_fma_f64 v[13:14], v[21:22], v[17:18], v[23:24]
	v_fma_f64 v[17:18], -v[21:22], v[17:18], v[25:26]
	ds_write_b128 v196, v[13:16] offset:4352
	ds_write_b128 v12, v[17:20] offset:23936
	ds_read_b128 v[13:16], v196 offset:6528
	ds_read_b128 v[17:20], v12 offset:21760
	s_waitcnt lgkmcnt(0)
	v_add_f64 v[10:11], v[13:14], -v[17:18]
	v_add_f64 v[21:22], v[15:16], v[19:20]
	v_add_f64 v[15:16], v[15:16], -v[19:20]
	v_add_f64 v[13:14], v[13:14], v[17:18]
	v_mul_f64 v[10:11], v[10:11], 0.5
	v_mul_f64 v[21:22], v[21:22], 0.5
	;; [unrolled: 1-line block ×3, first 2 shown]
	s_waitcnt vmcnt(1)
	v_mul_f64 v[17:18], v[10:11], v[2:3]
	v_fma_f64 v[19:20], v[21:22], v[2:3], v[15:16]
	v_fma_f64 v[2:3], v[21:22], v[2:3], -v[15:16]
	v_fma_f64 v[23:24], v[13:14], 0.5, v[17:18]
	v_fma_f64 v[25:26], v[13:14], 0.5, -v[17:18]
	global_load_dwordx4 v[13:16], v[27:28], off offset:2688
	v_fma_f64 v[19:20], -v[0:1], v[10:11], v[19:20]
	v_fma_f64 v[2:3], -v[0:1], v[10:11], v[2:3]
	v_fma_f64 v[17:18], v[21:22], v[0:1], v[23:24]
	v_fma_f64 v[0:1], -v[21:22], v[0:1], v[25:26]
	ds_write_b128 v196, v[17:20] offset:6528
	ds_write_b128 v12, v[0:3] offset:21760
	ds_read_b128 v[0:3], v196 offset:8704
	ds_read_b128 v[17:20], v12 offset:19584
	s_waitcnt lgkmcnt(0)
	v_add_f64 v[10:11], v[0:1], -v[17:18]
	v_add_f64 v[21:22], v[2:3], v[19:20]
	v_add_f64 v[2:3], v[2:3], -v[19:20]
	v_add_f64 v[0:1], v[0:1], v[17:18]
	v_mul_f64 v[10:11], v[10:11], 0.5
	v_mul_f64 v[19:20], v[21:22], 0.5
	;; [unrolled: 1-line block ×3, first 2 shown]
	s_waitcnt vmcnt(1)
	v_mul_f64 v[17:18], v[10:11], v[8:9]
	v_fma_f64 v[21:22], v[19:20], v[8:9], v[2:3]
	v_fma_f64 v[8:9], v[19:20], v[8:9], -v[2:3]
	v_fma_f64 v[23:24], v[0:1], 0.5, v[17:18]
	v_fma_f64 v[17:18], v[0:1], 0.5, -v[17:18]
	v_fma_f64 v[2:3], -v[6:7], v[10:11], v[21:22]
	v_fma_f64 v[8:9], -v[6:7], v[10:11], v[8:9]
	v_fma_f64 v[0:1], v[19:20], v[6:7], v[23:24]
	v_fma_f64 v[6:7], -v[19:20], v[6:7], v[17:18]
	ds_write_b128 v196, v[0:3] offset:8704
	ds_write_b128 v12, v[6:9] offset:19584
	ds_read_b128 v[0:3], v196 offset:10880
	ds_read_b128 v[6:9], v12 offset:17408
	s_waitcnt lgkmcnt(0)
	v_add_f64 v[10:11], v[0:1], -v[6:7]
	v_add_f64 v[17:18], v[2:3], v[8:9]
	v_add_f64 v[2:3], v[2:3], -v[8:9]
	v_add_f64 v[0:1], v[0:1], v[6:7]
	v_mul_f64 v[8:9], v[10:11], 0.5
	v_mul_f64 v[10:11], v[17:18], 0.5
	;; [unrolled: 1-line block ×3, first 2 shown]
	s_waitcnt vmcnt(0)
	v_mul_f64 v[6:7], v[8:9], v[15:16]
	v_fma_f64 v[17:18], v[10:11], v[15:16], v[2:3]
	v_fma_f64 v[15:16], v[10:11], v[15:16], -v[2:3]
	v_fma_f64 v[19:20], v[0:1], 0.5, v[6:7]
	v_fma_f64 v[6:7], v[0:1], 0.5, -v[6:7]
	v_fma_f64 v[2:3], -v[13:14], v[8:9], v[17:18]
	v_fma_f64 v[8:9], -v[13:14], v[8:9], v[15:16]
	v_fma_f64 v[0:1], v[10:11], v[13:14], v[19:20]
	v_fma_f64 v[6:7], -v[10:11], v[13:14], v[6:7]
	ds_write_b128 v196, v[0:3] offset:10880
	ds_write_b128 v12, v[6:9] offset:17408
	s_and_saveexec_b64 s[4:5], vcc
	s_cbranch_execz .LBB0_25
; %bb.24:
	s_movk_i32 s6, 0x3000
	v_add_co_u32_e32 v0, vcc, s6, v4
	v_addc_co_u32_e32 v1, vcc, 0, v5, vcc
	global_load_dwordx4 v[0:3], v[0:1], off offset:768
	ds_read_b128 v[4:7], v196 offset:13056
	ds_read_b128 v[8:11], v12 offset:15232
	s_waitcnt lgkmcnt(0)
	v_add_f64 v[13:14], v[4:5], -v[8:9]
	v_add_f64 v[15:16], v[6:7], v[10:11]
	v_add_f64 v[6:7], v[6:7], -v[10:11]
	v_add_f64 v[4:5], v[4:5], v[8:9]
	v_mul_f64 v[10:11], v[13:14], 0.5
	v_mul_f64 v[13:14], v[15:16], 0.5
	;; [unrolled: 1-line block ×3, first 2 shown]
	s_waitcnt vmcnt(0)
	v_mul_f64 v[8:9], v[10:11], v[2:3]
	v_fma_f64 v[15:16], v[13:14], v[2:3], v[6:7]
	v_fma_f64 v[2:3], v[13:14], v[2:3], -v[6:7]
	v_fma_f64 v[6:7], v[4:5], 0.5, v[8:9]
	v_fma_f64 v[17:18], v[4:5], 0.5, -v[8:9]
	v_fma_f64 v[4:5], -v[0:1], v[10:11], v[15:16]
	v_fma_f64 v[8:9], -v[0:1], v[10:11], v[2:3]
	v_fma_f64 v[2:3], v[13:14], v[0:1], v[6:7]
	v_fma_f64 v[6:7], -v[13:14], v[0:1], v[17:18]
	ds_write_b128 v196, v[2:5] offset:13056
	ds_write_b128 v12, v[6:9] offset:15232
.LBB0_25:
	s_or_b64 exec, exec, s[4:5]
	s_waitcnt lgkmcnt(0)
	s_barrier
	s_and_saveexec_b64 s[4:5], s[0:1]
	s_cbranch_execz .LBB0_28
; %bb.26:
	v_mul_lo_u32 v2, s3, v116
	v_mul_lo_u32 v3, s2, v117
	v_mad_u64_u32 v[0:1], s[0:1], s2, v116, 0
	v_mov_b32_e32 v6, s11
	v_lshl_add_u32 v12, v114, 4, 0
	v_add3_u32 v1, v1, v3, v2
	v_lshlrev_b64 v[0:1], 4, v[0:1]
	v_mov_b32_e32 v115, 0
	v_add_co_u32_e32 v0, vcc, s10, v0
	v_addc_co_u32_e32 v8, vcc, v6, v1, vcc
	v_lshlrev_b64 v[6:7], 4, v[112:113]
	ds_read_b128 v[2:5], v12
	v_add_co_u32_e32 v1, vcc, v0, v6
	v_addc_co_u32_e32 v0, vcc, v8, v7, vcc
	v_lshlrev_b64 v[6:7], 4, v[114:115]
	s_movk_i32 s0, 0x87
	v_add_co_u32_e32 v10, vcc, v1, v6
	v_addc_co_u32_e32 v11, vcc, v0, v7, vcc
	ds_read_b128 v[6:9], v12 offset:2176
	s_waitcnt lgkmcnt(1)
	global_store_dwordx4 v[10:11], v[2:5], off
	s_nop 0
	v_add_u32_e32 v2, 0x88, v114
	v_mov_b32_e32 v3, v115
	v_lshlrev_b64 v[2:3], 4, v[2:3]
	v_add_co_u32_e32 v2, vcc, v1, v2
	v_addc_co_u32_e32 v3, vcc, v0, v3, vcc
	s_waitcnt lgkmcnt(0)
	global_store_dwordx4 v[2:3], v[6:9], off
	ds_read_b128 v[2:5], v12 offset:4352
	v_add_u32_e32 v6, 0x110, v114
	v_mov_b32_e32 v7, v115
	v_lshlrev_b64 v[6:7], 4, v[6:7]
	v_add_co_u32_e32 v10, vcc, v1, v6
	v_addc_co_u32_e32 v11, vcc, v0, v7, vcc
	ds_read_b128 v[6:9], v12 offset:6528
	s_waitcnt lgkmcnt(1)
	global_store_dwordx4 v[10:11], v[2:5], off
	s_nop 0
	v_add_u32_e32 v2, 0x198, v114
	v_mov_b32_e32 v3, v115
	v_lshlrev_b64 v[2:3], 4, v[2:3]
	v_add_co_u32_e32 v2, vcc, v1, v2
	v_addc_co_u32_e32 v3, vcc, v0, v3, vcc
	s_waitcnt lgkmcnt(0)
	global_store_dwordx4 v[2:3], v[6:9], off
	ds_read_b128 v[2:5], v12 offset:8704
	v_add_u32_e32 v6, 0x220, v114
	v_mov_b32_e32 v7, v115
	v_lshlrev_b64 v[6:7], 4, v[6:7]
	;; [unrolled: 17-line block ×6, first 2 shown]
	v_add_co_u32_e32 v6, vcc, v1, v6
	v_addc_co_u32_e32 v7, vcc, v0, v7, vcc
	v_cmp_eq_u32_e32 vcc, s0, v114
	s_waitcnt lgkmcnt(0)
	global_store_dwordx4 v[6:7], v[2:5], off
	s_and_b64 exec, exec, vcc
	s_cbranch_execz .LBB0_28
; %bb.27:
	ds_read_b128 v[2:5], v115 offset:28288
	v_add_co_u32_e32 v6, vcc, 0x6000, v1
	v_addc_co_u32_e32 v7, vcc, 0, v0, vcc
	s_waitcnt lgkmcnt(0)
	global_store_dwordx4 v[6:7], v[2:5], off offset:3712
.LBB0_28:
	s_endpgm
	.section	.rodata,"a",@progbits
	.p2align	6, 0x0
	.amdhsa_kernel fft_rtc_fwd_len1768_factors_17_13_8_wgs_136_tpt_136_halfLds_dp_op_CI_CI_unitstride_sbrr_R2C_dirReg
		.amdhsa_group_segment_fixed_size 0
		.amdhsa_private_segment_fixed_size 220
		.amdhsa_kernarg_size 104
		.amdhsa_user_sgpr_count 6
		.amdhsa_user_sgpr_private_segment_buffer 1
		.amdhsa_user_sgpr_dispatch_ptr 0
		.amdhsa_user_sgpr_queue_ptr 0
		.amdhsa_user_sgpr_kernarg_segment_ptr 1
		.amdhsa_user_sgpr_dispatch_id 0
		.amdhsa_user_sgpr_flat_scratch_init 0
		.amdhsa_user_sgpr_private_segment_size 0
		.amdhsa_uses_dynamic_stack 0
		.amdhsa_system_sgpr_private_segment_wavefront_offset 1
		.amdhsa_system_sgpr_workgroup_id_x 1
		.amdhsa_system_sgpr_workgroup_id_y 0
		.amdhsa_system_sgpr_workgroup_id_z 0
		.amdhsa_system_sgpr_workgroup_info 0
		.amdhsa_system_vgpr_workitem_id 0
		.amdhsa_next_free_vgpr 256
		.amdhsa_next_free_sgpr 64
		.amdhsa_reserve_vcc 1
		.amdhsa_reserve_flat_scratch 0
		.amdhsa_float_round_mode_32 0
		.amdhsa_float_round_mode_16_64 0
		.amdhsa_float_denorm_mode_32 3
		.amdhsa_float_denorm_mode_16_64 3
		.amdhsa_dx10_clamp 1
		.amdhsa_ieee_mode 1
		.amdhsa_fp16_overflow 0
		.amdhsa_exception_fp_ieee_invalid_op 0
		.amdhsa_exception_fp_denorm_src 0
		.amdhsa_exception_fp_ieee_div_zero 0
		.amdhsa_exception_fp_ieee_overflow 0
		.amdhsa_exception_fp_ieee_underflow 0
		.amdhsa_exception_fp_ieee_inexact 0
		.amdhsa_exception_int_div_zero 0
	.end_amdhsa_kernel
	.text
.Lfunc_end0:
	.size	fft_rtc_fwd_len1768_factors_17_13_8_wgs_136_tpt_136_halfLds_dp_op_CI_CI_unitstride_sbrr_R2C_dirReg, .Lfunc_end0-fft_rtc_fwd_len1768_factors_17_13_8_wgs_136_tpt_136_halfLds_dp_op_CI_CI_unitstride_sbrr_R2C_dirReg
                                        ; -- End function
	.section	.AMDGPU.csdata,"",@progbits
; Kernel info:
; codeLenInByte = 17836
; NumSgprs: 68
; NumVgprs: 256
; ScratchSize: 220
; MemoryBound: 0
; FloatMode: 240
; IeeeMode: 1
; LDSByteSize: 0 bytes/workgroup (compile time only)
; SGPRBlocks: 8
; VGPRBlocks: 63
; NumSGPRsForWavesPerEU: 68
; NumVGPRsForWavesPerEU: 256
; Occupancy: 1
; WaveLimiterHint : 1
; COMPUTE_PGM_RSRC2:SCRATCH_EN: 1
; COMPUTE_PGM_RSRC2:USER_SGPR: 6
; COMPUTE_PGM_RSRC2:TRAP_HANDLER: 0
; COMPUTE_PGM_RSRC2:TGID_X_EN: 1
; COMPUTE_PGM_RSRC2:TGID_Y_EN: 0
; COMPUTE_PGM_RSRC2:TGID_Z_EN: 0
; COMPUTE_PGM_RSRC2:TIDIG_COMP_CNT: 0
	.type	__hip_cuid_6c8a15ea13650c77,@object ; @__hip_cuid_6c8a15ea13650c77
	.section	.bss,"aw",@nobits
	.globl	__hip_cuid_6c8a15ea13650c77
__hip_cuid_6c8a15ea13650c77:
	.byte	0                               ; 0x0
	.size	__hip_cuid_6c8a15ea13650c77, 1

	.ident	"AMD clang version 19.0.0git (https://github.com/RadeonOpenCompute/llvm-project roc-6.4.0 25133 c7fe45cf4b819c5991fe208aaa96edf142730f1d)"
	.section	".note.GNU-stack","",@progbits
	.addrsig
	.addrsig_sym __hip_cuid_6c8a15ea13650c77
	.amdgpu_metadata
---
amdhsa.kernels:
  - .args:
      - .actual_access:  read_only
        .address_space:  global
        .offset:         0
        .size:           8
        .value_kind:     global_buffer
      - .offset:         8
        .size:           8
        .value_kind:     by_value
      - .actual_access:  read_only
        .address_space:  global
        .offset:         16
        .size:           8
        .value_kind:     global_buffer
      - .actual_access:  read_only
        .address_space:  global
        .offset:         24
        .size:           8
        .value_kind:     global_buffer
      - .actual_access:  read_only
        .address_space:  global
        .offset:         32
        .size:           8
        .value_kind:     global_buffer
      - .offset:         40
        .size:           8
        .value_kind:     by_value
      - .actual_access:  read_only
        .address_space:  global
        .offset:         48
        .size:           8
        .value_kind:     global_buffer
      - .actual_access:  read_only
        .address_space:  global
        .offset:         56
        .size:           8
        .value_kind:     global_buffer
      - .offset:         64
        .size:           4
        .value_kind:     by_value
      - .actual_access:  read_only
        .address_space:  global
        .offset:         72
        .size:           8
        .value_kind:     global_buffer
      - .actual_access:  read_only
        .address_space:  global
        .offset:         80
        .size:           8
        .value_kind:     global_buffer
      - .actual_access:  read_only
        .address_space:  global
        .offset:         88
        .size:           8
        .value_kind:     global_buffer
      - .actual_access:  write_only
        .address_space:  global
        .offset:         96
        .size:           8
        .value_kind:     global_buffer
    .group_segment_fixed_size: 0
    .kernarg_segment_align: 8
    .kernarg_segment_size: 104
    .language:       OpenCL C
    .language_version:
      - 2
      - 0
    .max_flat_workgroup_size: 136
    .name:           fft_rtc_fwd_len1768_factors_17_13_8_wgs_136_tpt_136_halfLds_dp_op_CI_CI_unitstride_sbrr_R2C_dirReg
    .private_segment_fixed_size: 220
    .sgpr_count:     68
    .sgpr_spill_count: 0
    .symbol:         fft_rtc_fwd_len1768_factors_17_13_8_wgs_136_tpt_136_halfLds_dp_op_CI_CI_unitstride_sbrr_R2C_dirReg.kd
    .uniform_work_group_size: 1
    .uses_dynamic_stack: false
    .vgpr_count:     256
    .vgpr_spill_count: 54
    .wavefront_size: 64
amdhsa.target:   amdgcn-amd-amdhsa--gfx906
amdhsa.version:
  - 1
  - 2
...

	.end_amdgpu_metadata
